;; amdgpu-corpus repo=triton-lang/triton kind=triton arch=gfx1201 opt=O3 lang=triton
	.amdgcn_target "amdgcn-amd-amdhsa--gfx1201"
	.amdhsa_code_object_version 5
	.text
	.globl	matmul_kernel_persistent        ; -- Begin function matmul_kernel_persistent
	.p2align	8
	.type	matmul_kernel_persistent,@function
matmul_kernel_persistent:               ; @matmul_kernel_persistent
.Lfunc_begin0:
	.file	1 "/root/src/amdgpu-assembly/repos/triton-lang__triton-aot" "persistent_matmul.py"
	.loc	1 19 0                          ; persistent_matmul.py:19:0
	.cfi_sections .debug_frame
	.cfi_startproc
; %bb.0:
	s_load_b128 s[20:23], s[0:1], 0x10
.Ltmp0:
	.loc	1 61 24 prologue_end            ; persistent_matmul.py:61:24
	s_bfe_u32 s2, ttmp8, 0x50019
	s_clause 0x1
	s_load_b32 s38, s[0:1], 0x20
	s_load_b64 s[18:19], s[0:1], 0x34
	.loc	1 40 35                         ; persistent_matmul.py:40:35
	s_lshl_b32 s2, s2, 5
	s_delay_alu instid0(SALU_CYCLE_1) | instskip(SKIP_1) | instid1(VALU_DEP_1)
	v_and_or_b32 v2, v0, 31, s2
	s_and_b32 s3, s2, 0xc0
	v_lshrrev_b32_e32 v1, 1, v2
	s_delay_alu instid0(VALU_DEP_1) | instskip(SKIP_1) | instid1(VALU_DEP_2)
	v_and_b32_e32 v65, 24, v1
	.loc	1 47 41                         ; persistent_matmul.py:47:41
	v_and_b32_e32 v1, 15, v0
	.loc	1 40 35                         ; persistent_matmul.py:40:35
	v_or_b32_e32 v66, 1, v65
.Ltmp1:
	.file	2 "/root/.local/lib/python3.13/site-packages/triton/language" "standard.py"
	.loc	2 43 17                         ; standard.py:43:17 @[ persistent_matmul.py:31:27 ]
	s_wait_kmcnt 0x0
	s_add_co_i32 s4, s22, 0x7f
.Ltmp2:
	.loc	2 43 17 is_stmt 0               ; standard.py:43:17 @[ persistent_matmul.py:32:27 ]
	s_add_co_i32 s5, s23, 63
.Ltmp3:
	.loc	2 43 30                         ; standard.py:43:30 @[ persistent_matmul.py:31:27 ]
	s_ashr_i32 s6, s4, 31
.Ltmp4:
	.loc	2 43 30                         ; standard.py:43:30 @[ persistent_matmul.py:32:27 ]
	s_ashr_i32 s7, s5, 31
.Ltmp5:
	.loc	2 43 30                         ; standard.py:43:30 @[ persistent_matmul.py:31:27 ]
	s_lshr_b32 s6, s6, 25
.Ltmp6:
	.loc	2 43 30                         ; standard.py:43:30 @[ persistent_matmul.py:32:27 ]
	s_lshr_b32 s7, s7, 26
.Ltmp7:
	.loc	2 43 30                         ; standard.py:43:30 @[ persistent_matmul.py:31:27 ]
	s_add_co_i32 s4, s4, s6
.Ltmp8:
	.loc	2 43 30                         ; standard.py:43:30 @[ persistent_matmul.py:32:27 ]
	s_add_co_i32 s5, s5, s7
.Ltmp9:
	.loc	2 43 30                         ; standard.py:43:30 @[ persistent_matmul.py:31:27 ]
	s_ashr_i32 s33, s4, 7
.Ltmp10:
	.loc	1 47 41 is_stmt 1               ; persistent_matmul.py:47:41
	s_wait_alu depctr_sa_sdst(0)
	s_lshr_b32 s4, s3, 2
	.loc	1 40 35                         ; persistent_matmul.py:40:35
	v_or_b32_e32 v67, 2, v65
	.loc	1 47 41                         ; persistent_matmul.py:47:41
	v_or_b32_e32 v77, s4, v1
	.loc	1 40 35                         ; persistent_matmul.py:40:35
	v_or_b32_e32 v68, 3, v65
	v_or_b32_e32 v69, 4, v65
	v_or_b32_e32 v70, 5, v65
	;; [unrolled: 1-line block ×6, first 2 shown]
.Ltmp11:
	.loc	2 43 30                         ; standard.py:43:30 @[ persistent_matmul.py:32:27 ]
	s_ashr_i32 s5, s5, 6
.Ltmp12:
	.loc	1 40 35                         ; persistent_matmul.py:40:35
	v_or_b32_e32 v75, 34, v65
	v_or_b32_e32 v76, 35, v65
	;; [unrolled: 1-line block ×6, first 2 shown]
	.loc	1 47 41                         ; persistent_matmul.py:47:41
	v_or_b32_e32 v82, 64, v77
	.loc	1 55 24                         ; persistent_matmul.py:55:24
	s_add_co_i32 s6, s38, 0x7e
	.loc	1 41 38                         ; persistent_matmul.py:41:38
	s_wait_alu depctr_sa_sdst(0)
	s_lshl_b32 s37, s5, 2
	.loc	1 34 28                         ; persistent_matmul.py:34:28
	s_mul_i32 s36, s5, s33
	.loc	1 55 24                         ; persistent_matmul.py:55:24
	s_cmp_gt_u32 s6, 0x7e
	s_mov_b32 s5, -1
	s_cbranch_scc0 .LBB0_169
; %bb.1:
	.loc	1 43 59                         ; persistent_matmul.py:43:59
	s_sub_co_i32 s5, s36, ttmp9
.Ltmp13:
	.loc	2 43 17 is_stmt 0               ; standard.py:43:17 @[ persistent_matmul.py:33:25 ]
	s_add_co_i32 s6, s38, 63
.Ltmp14:
	.loc	1 43 59                         ; persistent_matmul.py:43:59
	s_wait_alu depctr_sa_sdst(0)
	s_mul_hi_i32 s7, s5, 0x6bca1af3
.Ltmp15:
	.loc	2 43 30                         ; standard.py:43:30 @[ persistent_matmul.py:33:25 ]
	s_ashr_i32 s8, s6, 31
.Ltmp16:
	.loc	1 43 59                         ; persistent_matmul.py:43:59
	s_lshr_b32 s9, s7, 31
	s_ashr_i32 s7, s7, 7
.Ltmp17:
	.loc	2 43 30                         ; standard.py:43:30 @[ persistent_matmul.py:33:25 ]
	s_lshr_b32 s8, s8, 26
.Ltmp18:
	.loc	1 43 59                         ; persistent_matmul.py:43:59
	s_add_co_i32 s10, s7, s9
.Ltmp19:
	.loc	2 43 30                         ; standard.py:43:30 @[ persistent_matmul.py:33:25 ]
	s_add_co_i32 s6, s6, s8
.Ltmp20:
	.loc	1 43 59                         ; persistent_matmul.py:43:59
	s_mulk_i32 s10, 0x130
.Ltmp21:
	.loc	2 43 30                         ; standard.py:43:30 @[ persistent_matmul.py:33:25 ]
	s_ashr_i32 s6, s6, 6
.Ltmp22:
	.loc	1 43 59                         ; persistent_matmul.py:43:59
	s_cmp_lg_u32 s5, s10
	s_cselect_b32 s8, -1, 0
	s_cmp_gt_i32 s5, -1
	s_cselect_b32 s5, -1, 0
	s_wait_alu depctr_sa_sdst(0)
	s_and_b32 s5, s5, s8
	s_add_co_ci_u32 s5, s7, s9
	s_max_i32 s40, s6, 1
	s_wait_alu depctr_sa_sdst(0)
	s_mul_i32 s39, s5, s40
	s_delay_alu instid0(SALU_CYCLE_1)
	s_cmp_lt_i32 s39, 1
	s_cbranch_scc1 .LBB0_168
; %bb.2:                                ; %.lr.ph
	.loc	1 0 59                          ; persistent_matmul.py:0:59
	v_dual_mov_b32 v92, 0 :: v_dual_lshlrev_b32 v3, 4, v0
	s_abs_i32 s51, s37
	s_clause 0x1
	s_load_b128 s[24:27], s[0:1], 0x0
	s_load_b128 s[28:31], s[0:1], 0x24
	s_cvt_f32_u32 s0, s51
	v_dual_mov_b32 v32, 0 :: v_dual_and_b32 v3, 0x70, v3
	.loc	1 40 35 is_stmt 1               ; persistent_matmul.py:40:35
	v_and_b32_e32 v83, 63, v2
	s_delay_alu instid0(SALU_CYCLE_1) | instskip(SKIP_3) | instid1(VALU_DEP_3)
	v_rcp_iflag_f32_e32 v4, s0
	v_dual_mov_b32 v93, 0 :: v_dual_lshlrev_b32 v2, 1, v2
	v_dual_mov_b32 v95, 0 :: v_dual_and_b32 v0, 16, v0
	v_lshl_or_b32 v3, v1, 7, v3
	v_dual_mov_b32 v97, 0 :: v_dual_and_b32 v84, 0x1fe, v2
	s_and_b32 s1, s2, 32
	v_mov_b32_e32 v99, 0
	s_delay_alu instid0(VALU_DEP_3) | instskip(SKIP_1) | instid1(TRANS32_DEP_1)
	v_xor_b32_e32 v2, v3, v0
	v_lshlrev_b32_e32 v0, 6, v0
	v_readfirstlane_b32 s0, v4
	v_xor_b32_e32 v85, s4, v84
	v_dual_mov_b32 v98, 0 :: v_dual_mov_b32 v105, 0
	v_lshl_or_b32 v86, s3, 5, v2
	s_wait_alu depctr_sa_sdst(0)
	v_add3_u32 v0, s1, 0, v0
	s_mul_f32 s0, s0, 0x4f7ffffe
	v_xor_b32_e32 v2, 64, v85
	s_sub_co_i32 s1, 0, s51
	v_xor_b32_e32 v3, 32, v86
	v_xor_b32_e32 v4, 64, v86
	s_wait_alu depctr_sa_sdst(0)
	s_cvt_u32_f32 s0, s0
	v_xor_b32_e32 v5, 0x60, v86
	v_lshl_add_u32 v87, v1, 1, v0
	v_mov_b32_e32 v0, 0
	s_wait_alu depctr_sa_sdst(0)
	s_mul_i32 s1, s1, s0
	v_dual_mov_b32 v101, 0 :: v_dual_add_nc_u32 v88, 0, v2
	v_dual_mov_b32 v94, 0 :: v_dual_add_nc_u32 v89, 0, v3
	;; [unrolled: 1-line block ×4, first 2 shown]
	v_dual_mov_b32 v100, 0 :: v_dual_mov_b32 v107, 0
	v_dual_mov_b32 v102, 0 :: v_dual_mov_b32 v109, 0
	;; [unrolled: 1-line block ×25, first 2 shown]
	v_mov_b32_e32 v28, v0
	v_mov_b32_e32 v30, v0
	.loc	1 38 28                         ; persistent_matmul.py:38:28
	s_add_co_i32 s41, ttmp9, 0xfffffed0
	.loc	1 40 35                         ; persistent_matmul.py:40:35
	s_lshr_b32 s42, s3, 6
	s_mov_b32 s17, 0
	s_wait_alu depctr_sa_sdst(0)
	s_mul_hi_u32 s1, s0, s1
	.loc	1 43 59                         ; persistent_matmul.py:43:59
	s_add_co_i32 s40, s40, -1
	.loc	1 40 35                         ; persistent_matmul.py:40:35
	s_or_b32 s43, s42, 4
	s_or_b32 s44, s42, 8
	;; [unrolled: 1-line block ×15, first 2 shown]
	s_ashr_i32 s59, s37, 31
	s_wait_alu depctr_sa_sdst(0)
	s_add_co_i32 s34, s0, s1
	s_mov_b32 s35, s17
	s_mov_b32 s0, 0
	;; [unrolled: 1-line block ×4, first 2 shown]
	s_branch .LBB0_5
.LBB0_3:                                ; %Flow
                                        ;   in Loop: Header=BB0_5 Depth=1
	.loc	1 0 35 is_stmt 0                ; persistent_matmul.py:0:35
	s_wait_alu depctr_sa_sdst(0)
	s_or_b32 exec_lo, exec_lo, s0
.LBB0_4:                                ;   in Loop: Header=BB0_5 Depth=1
	.loc	1 43 59 is_stmt 1               ; persistent_matmul.py:43:59
	s_add_co_i32 s0, s62, 1
	s_add_co_i32 s1, s61, 1
	s_wait_alu depctr_sa_sdst(0)
	v_cndmask_b32_e64 v0, v0, 0, s63
	v_cndmask_b32_e64 v1, v1, 0, s63
	;; [unrolled: 1-line block ×32, first 2 shown]
	s_and_b32 s2, s63, exec_lo
	s_cselect_b32 s61, 0, s1
	s_add_co_i32 s39, s39, -1
	s_delay_alu instid0(SALU_CYCLE_1)
	s_cmp_lg_u32 s39, 0
	s_cbranch_scc0 .LBB0_168
.LBB0_5:                                ; =>This Inner Loop Header: Depth=1
	.loc	1 43 59                         ; persistent_matmul.py:43:59
	s_cmp_eq_u32 s61, 0
	s_cselect_b32 s1, -1, 0
	s_cmp_lg_u32 s61, 0
	s_cbranch_scc1 .LBB0_7
; %bb.6:                                ;   in Loop: Header=BB0_5 Depth=1
	s_addk_co_i32 s60, 0x130
	s_delay_alu instid0(SALU_CYCLE_1)
.Ltmp23:
	.loc	1 10 26                         ; persistent_matmul.py:10:26 @[ persistent_matmul.py:44:88 ]
	s_abs_i32 s16, s60
	s_wait_alu depctr_sa_sdst(0)
	s_mul_u64 s[2:3], s[16:17], s[34:35]
	s_ashr_i32 s2, s60, 31
	s_wait_alu depctr_sa_sdst(0)
	s_mul_i32 s4, s3, s51
	s_xor_b32 s5, s2, s59
	s_wait_alu depctr_sa_sdst(0)
	s_sub_co_i32 s4, s16, s4
	s_add_co_i32 s6, s3, 1
	s_wait_alu depctr_sa_sdst(0)
	s_sub_co_i32 s7, s4, s51
	s_cmp_ge_u32 s4, s51
	s_cselect_b32 s3, s6, s3
	s_wait_alu depctr_sa_sdst(0)
	s_cselect_b32 s4, s7, s4
	s_add_co_i32 s6, s3, 1
	s_wait_alu depctr_sa_sdst(0)
	s_cmp_ge_u32 s4, s51
	s_cselect_b32 s3, s6, s3
	s_wait_alu depctr_sa_sdst(0)
	s_xor_b32 s3, s3, s5
	s_wait_alu depctr_sa_sdst(0)
	s_sub_co_i32 s3, s3, s5
	.loc	1 11 29                         ; persistent_matmul.py:11:29 @[ persistent_matmul.py:44:88 ]
	s_wait_alu depctr_sa_sdst(0)
	s_lshl_b32 s4, s3, 2
	.loc	1 14 23                         ; persistent_matmul.py:14:23 @[ persistent_matmul.py:44:88 ]
	s_mul_i32 s3, s3, s37
	.loc	1 12 35                         ; persistent_matmul.py:12:35 @[ persistent_matmul.py:44:88 ]
	s_wait_alu depctr_sa_sdst(0)
	s_sub_co_i32 s5, s33, s4
	.loc	1 12 48 is_stmt 0               ; persistent_matmul.py:12:48 @[ persistent_matmul.py:44:88 ]
	s_wait_alu depctr_sa_sdst(0)
	s_min_i32 s5, s5, 4
	.loc	1 13 37 is_stmt 1               ; persistent_matmul.py:13:37 @[ persistent_matmul.py:44:88 ]
	s_wait_alu depctr_sa_sdst(0)
	s_abs_i32 s6, s5
	s_wait_alu depctr_sa_sdst(0)
	s_cvt_f32_u32 s7, s6
	s_sub_co_i32 s8, 0, s6
	s_wait_alu depctr_sa_sdst(0)
	s_delay_alu instid0(SALU_CYCLE_1) | instskip(NEXT) | instid1(TRANS32_DEP_1)
	v_rcp_iflag_f32_e32 v32, s7
	v_readfirstlane_b32 s7, v32
	s_mul_f32 s7, s7, 0x4f7ffffe
	s_wait_alu depctr_sa_sdst(0)
	s_delay_alu instid0(SALU_CYCLE_2) | instskip(SKIP_1) | instid1(SALU_CYCLE_2)
	s_cvt_u32_f32 s7, s7
	s_wait_alu depctr_sa_sdst(0)
	s_mul_i32 s8, s8, s7
	s_wait_alu depctr_sa_sdst(0)
	s_mul_hi_u32 s8, s7, s8
	s_wait_alu depctr_sa_sdst(0)
	s_add_co_i32 s7, s7, s8
	s_wait_alu depctr_sa_sdst(0)
	s_mul_hi_u32 s8, s16, s7
	s_wait_alu depctr_sa_sdst(0)
	s_mul_i32 s8, s8, s6
	s_wait_alu depctr_sa_sdst(0)
	s_sub_co_i32 s8, s16, s8
	s_wait_alu depctr_sa_sdst(0)
	s_sub_co_i32 s9, s8, s6
	s_cmp_ge_u32 s8, s6
	s_wait_alu depctr_sa_sdst(0)
	s_cselect_b32 s8, s9, s8
	s_wait_alu depctr_sa_sdst(0)
	s_sub_co_i32 s9, s8, s6
	s_cmp_ge_u32 s8, s6
	s_wait_alu depctr_sa_sdst(0)
	s_cselect_b32 s8, s9, s8
	.loc	1 14 23                         ; persistent_matmul.py:14:23 @[ persistent_matmul.py:44:88 ]
	s_sub_co_i32 s3, s60, s3
	.loc	1 13 37                         ; persistent_matmul.py:13:37 @[ persistent_matmul.py:44:88 ]
	s_wait_alu depctr_sa_sdst(0)
	s_xor_b32 s8, s8, s2
	.loc	1 14 44                         ; persistent_matmul.py:14:44 @[ persistent_matmul.py:44:88 ]
	s_xor_b32 s5, s3, s5
	s_abs_i32 s3, s3
	.loc	1 13 37                         ; persistent_matmul.py:13:37 @[ persistent_matmul.py:44:88 ]
	s_wait_alu depctr_sa_sdst(0)
	s_sub_co_i32 s2, s8, s2
	.loc	1 14 44                         ; persistent_matmul.py:14:44 @[ persistent_matmul.py:44:88 ]
	s_mul_hi_u32 s7, s3, s7
	.loc	1 13 27                         ; persistent_matmul.py:13:27 @[ persistent_matmul.py:44:88 ]
	s_wait_alu depctr_sa_sdst(0)
	s_add_co_i32 s4, s4, s2
	.loc	1 14 44                         ; persistent_matmul.py:14:44 @[ persistent_matmul.py:44:88 ]
	s_mul_i32 s8, s7, s6
	s_ashr_i32 s5, s5, 31
	s_wait_alu depctr_sa_sdst(0)
	s_sub_co_i32 s2, s3, s8
	s_add_co_i32 s3, s7, 1
	s_wait_alu depctr_sa_sdst(0)
	s_sub_co_i32 s8, s2, s6
	s_cmp_ge_u32 s2, s6
	s_cselect_b32 s3, s3, s7
	s_wait_alu depctr_sa_sdst(0)
	s_cselect_b32 s2, s8, s2
	s_add_co_i32 s7, s3, 1
	s_wait_alu depctr_sa_sdst(0)
	s_cmp_ge_u32 s2, s6
	s_cselect_b32 s2, s7, s3
.Ltmp24:
	.loc	1 45 26                         ; persistent_matmul.py:45:26
	s_lshl_b32 s3, s4, 7
.Ltmp25:
	.loc	1 14 44                         ; persistent_matmul.py:14:44 @[ persistent_matmul.py:44:88 ]
	s_wait_alu depctr_sa_sdst(0)
	s_xor_b32 s2, s2, s5
.Ltmp26:
	.loc	1 47 28                         ; persistent_matmul.py:47:28
	s_or_b32 s4, s3, s42
	s_or_b32 s6, s3, s43
	;; [unrolled: 1-line block ×16, first 2 shown]
.Ltmp27:
	.loc	1 14 44                         ; persistent_matmul.py:14:44 @[ persistent_matmul.py:44:88 ]
	s_wait_alu depctr_sa_sdst(0)
	s_sub_co_i32 s2, s2, s5
.Ltmp28:
	.loc	1 47 28                         ; persistent_matmul.py:47:28
	s_or_b32 s5, s4, 64
	s_or_b32 s65, s4, 0x44
	;; [unrolled: 1-line block ×16, first 2 shown]
	.loc	1 49 37                         ; persistent_matmul.py:49:37
	s_cmp_lt_i32 s4, s22
	.loc	1 48 28                         ; persistent_matmul.py:48:28
	s_wait_alu depctr_sa_sdst(0)
	v_lshl_or_b32 v32, s2, 6, v83
	.loc	1 49 49                         ; persistent_matmul.py:49:49
	s_cselect_b32 s4, s4, 0
	.loc	1 49 37 is_stmt 0               ; persistent_matmul.py:49:37
	s_cmp_lt_i32 s6, s22
	.loc	1 57 49 is_stmt 1               ; persistent_matmul.py:57:49
	s_wait_kmcnt 0x0
	s_wait_alu depctr_sa_sdst(0)
	s_mul_i32 s4, s4, s28
	.loc	1 49 49                         ; persistent_matmul.py:49:49
	s_cselect_b32 s6, s6, 0
	.loc	1 49 37 is_stmt 0               ; persistent_matmul.py:49:37
	s_cmp_lt_i32 s7, s22
	.loc	1 50 37 is_stmt 1               ; persistent_matmul.py:50:37
	v_cmp_gt_i32_e32 vcc_lo, s23, v32
	.loc	1 49 49                         ; persistent_matmul.py:49:49
	s_cselect_b32 s7, s7, 0
	.loc	1 49 37 is_stmt 0               ; persistent_matmul.py:49:37
	s_cmp_lt_i32 s8, s22
	.loc	1 57 49 is_stmt 1               ; persistent_matmul.py:57:49
	s_wait_alu depctr_sa_sdst(0)
	s_mul_i32 s6, s6, s28
	.loc	1 49 49                         ; persistent_matmul.py:49:49
	s_cselect_b32 s8, s8, 0
	.loc	1 49 37 is_stmt 0               ; persistent_matmul.py:49:37
	s_cmp_lt_i32 s9, s22
	.loc	1 57 49 is_stmt 1               ; persistent_matmul.py:57:49
	s_mul_i32 s7, s7, s28
	.loc	1 49 49                         ; persistent_matmul.py:49:49
	s_cselect_b32 s9, s9, 0
	.loc	1 49 37 is_stmt 0               ; persistent_matmul.py:49:37
	s_cmp_lt_i32 s10, s22
	.loc	1 57 49 is_stmt 1               ; persistent_matmul.py:57:49
	s_wait_alu depctr_sa_sdst(0)
	s_mul_i32 s8, s8, s28
	.loc	1 49 49                         ; persistent_matmul.py:49:49
	s_cselect_b32 s10, s10, 0
	.loc	1 49 37 is_stmt 0               ; persistent_matmul.py:49:37
	s_cmp_lt_i32 s11, s22
	.loc	1 57 49 is_stmt 1               ; persistent_matmul.py:57:49
	s_mul_i32 s9, s9, s28
	;; [unrolled: 13-line block ×14, first 2 shown]
	.loc	1 49 49                         ; persistent_matmul.py:49:49
	s_cselect_b32 s77, s78, 0
	.loc	1 49 37 is_stmt 0               ; persistent_matmul.py:49:37
	s_cmp_lt_i32 s79, s22
	.loc	1 57 49 is_stmt 1               ; persistent_matmul.py:57:49
	s_wait_alu depctr_sa_sdst(0)
	s_mul_i32 s76, s76, s28
	.loc	1 49 49                         ; persistent_matmul.py:49:49
	s_cselect_b32 s78, s79, 0
	.loc	1 57 49                         ; persistent_matmul.py:57:49
	s_mul_i32 s77, s77, s28
	s_wait_alu depctr_sa_sdst(0)
	s_mul_i32 s78, s78, s28
	.loc	1 50 49                         ; persistent_matmul.py:50:49
	s_wait_alu depctr_sa_sdst(0) depctr_va_vcc(0)
	v_dual_cndmask_b32 v32, 0, v32 :: v_dual_mov_b32 v123, s78
	.loc	1 43 59                         ; persistent_matmul.py:43:59
	v_dual_mov_b32 v122, s77 :: v_dual_mov_b32 v121, s76
	v_dual_mov_b32 v120, s75 :: v_dual_mov_b32 v119, s74
	s_delay_alu instid0(VALU_DEP_3)
	.loc	1 58 79                         ; persistent_matmul.py:58:79
	v_mul_lo_u32 v32, v32, s31
	.loc	1 43 59                         ; persistent_matmul.py:43:59
	v_dual_mov_b32 v118, s73 :: v_dual_mov_b32 v117, s72
	v_dual_mov_b32 v116, s71 :: v_dual_mov_b32 v115, s70
	;; [unrolled: 1-line block ×13, first 2 shown]
	v_mov_b32_e32 v92, s4
.LBB0_7:                                ;   in Loop: Header=BB0_5 Depth=1
	s_wait_alu depctr_sa_sdst(0)
	s_and_b32 s1, s1, exec_lo
	s_cselect_b32 s62, 0, s0
	v_mov_b32_e32 v34, 0
	.loc	1 56 26                         ; persistent_matmul.py:56:26
	s_wait_alu depctr_sa_sdst(0)
	s_lshl_b32 s1, s62, 6
	.loc	1 56 41 is_stmt 0               ; persistent_matmul.py:56:41
	s_wait_alu depctr_sa_sdst(0)
	v_or_b32_e32 v33, s1, v83
	.loc	1 60 68 is_stmt 1               ; persistent_matmul.py:60:68
	s_sub_co_i32 s2, s38, s1
	.loc	1 60 64 is_stmt 0               ; persistent_matmul.py:60:64
	s_wait_alu depctr_sa_sdst(0)
	v_cmp_gt_i32_e32 vcc_lo, s2, v83
	.loc	1 57 79 is_stmt 1               ; persistent_matmul.py:57:79
	s_wait_kmcnt 0x0
	v_mul_lo_u32 v51, v33, s29
	v_mov_b32_e32 v33, 0
	.loc	1 60 24                         ; persistent_matmul.py:60:24
	s_and_saveexec_b32 s3, vcc_lo
	s_cbranch_execz .LBB0_9
; %bb.8:                                ;   in Loop: Header=BB0_5 Depth=1
	.loc	1 0 24 is_stmt 0                ; persistent_matmul.py:0:24
	s_delay_alu instid0(VALU_DEP_2) | instskip(NEXT) | instid1(VALU_DEP_1)
	v_add_nc_u32_e32 v34, v92, v51
	v_ashrrev_i32_e32 v35, 31, v34
	s_delay_alu instid0(VALU_DEP_1) | instskip(NEXT) | instid1(VALU_DEP_1)
	v_lshlrev_b64_e32 v[34:35], 1, v[34:35]
	v_add_co_u32 v34, s0, s24, v34
	s_wait_alu depctr_va_sdst(0)
	s_delay_alu instid0(VALU_DEP_2)
	v_add_co_ci_u32_e64 v35, null, s25, v35, s0
	.loc	1 60 24                         ; persistent_matmul.py:60:24
	global_load_u16 v34, v[34:35], off
.LBB0_9:                                ;   in Loop: Header=BB0_5 Depth=1
	.loc	1 0 24                          ; persistent_matmul.py:0:24
	s_wait_alu depctr_sa_sdst(0)
	s_or_b32 exec_lo, exec_lo, s3
	.loc	1 60 24                         ; persistent_matmul.py:60:24
	s_and_saveexec_b32 s3, vcc_lo
	s_cbranch_execz .LBB0_11
; %bb.10:                               ;   in Loop: Header=BB0_5 Depth=1
	.loc	1 57 61 is_stmt 1               ; persistent_matmul.py:57:61
	v_add_nc_u32_e32 v35, v93, v51
	s_delay_alu instid0(VALU_DEP_1) | instskip(NEXT) | instid1(VALU_DEP_1)
	.loc	1 57 30 is_stmt 0               ; persistent_matmul.py:57:30
	v_ashrrev_i32_e32 v36, 31, v35
	v_lshlrev_b64_e32 v[35:36], 1, v[35:36]
	s_delay_alu instid0(VALU_DEP_1) | instskip(SKIP_1) | instid1(VALU_DEP_2)
	v_add_co_u32 v35, s0, s24, v35
	s_wait_alu depctr_va_sdst(0)
	v_add_co_ci_u32_e64 v36, null, s25, v36, s0
	.loc	1 60 24 is_stmt 1               ; persistent_matmul.py:60:24
	global_load_u16 v33, v[35:36], off
.LBB0_11:                               ;   in Loop: Header=BB0_5 Depth=1
	.loc	1 0 24 is_stmt 0                ; persistent_matmul.py:0:24
	s_wait_alu depctr_sa_sdst(0)
	s_or_b32 exec_lo, exec_lo, s3
	v_dual_mov_b32 v35, 0 :: v_dual_mov_b32 v36, 0
	.loc	1 60 24                         ; persistent_matmul.py:60:24
	s_and_saveexec_b32 s3, vcc_lo
	s_cbranch_execz .LBB0_13
; %bb.12:                               ;   in Loop: Header=BB0_5 Depth=1
	.loc	1 57 61 is_stmt 1               ; persistent_matmul.py:57:61
	v_add_nc_u32_e32 v36, v94, v51
	s_delay_alu instid0(VALU_DEP_1) | instskip(NEXT) | instid1(VALU_DEP_1)
	.loc	1 57 30 is_stmt 0               ; persistent_matmul.py:57:30
	v_ashrrev_i32_e32 v37, 31, v36
	v_lshlrev_b64_e32 v[36:37], 1, v[36:37]
	s_delay_alu instid0(VALU_DEP_1) | instskip(SKIP_1) | instid1(VALU_DEP_2)
	v_add_co_u32 v36, s0, s24, v36
	s_wait_alu depctr_va_sdst(0)
	v_add_co_ci_u32_e64 v37, null, s25, v37, s0
	.loc	1 60 24 is_stmt 1               ; persistent_matmul.py:60:24
	global_load_u16 v36, v[36:37], off
.LBB0_13:                               ;   in Loop: Header=BB0_5 Depth=1
	.loc	1 0 24 is_stmt 0                ; persistent_matmul.py:0:24
	s_wait_alu depctr_sa_sdst(0)
	s_or_b32 exec_lo, exec_lo, s3
	.loc	1 60 24                         ; persistent_matmul.py:60:24
	s_and_saveexec_b32 s3, vcc_lo
	s_cbranch_execz .LBB0_15
; %bb.14:                               ;   in Loop: Header=BB0_5 Depth=1
	.loc	1 57 61 is_stmt 1               ; persistent_matmul.py:57:61
	v_add_nc_u32_e32 v37, v95, v51
	s_delay_alu instid0(VALU_DEP_1) | instskip(NEXT) | instid1(VALU_DEP_1)
	.loc	1 57 30 is_stmt 0               ; persistent_matmul.py:57:30
	v_ashrrev_i32_e32 v38, 31, v37
	v_lshlrev_b64_e32 v[37:38], 1, v[37:38]
	s_delay_alu instid0(VALU_DEP_1) | instskip(SKIP_1) | instid1(VALU_DEP_2)
	v_add_co_u32 v37, s0, s24, v37
	s_wait_alu depctr_va_sdst(0)
	v_add_co_ci_u32_e64 v38, null, s25, v38, s0
	.loc	1 60 24 is_stmt 1               ; persistent_matmul.py:60:24
	global_load_u16 v35, v[37:38], off
.LBB0_15:                               ;   in Loop: Header=BB0_5 Depth=1
	.loc	1 0 24 is_stmt 0                ; persistent_matmul.py:0:24
	s_wait_alu depctr_sa_sdst(0)
	s_or_b32 exec_lo, exec_lo, s3
	v_dual_mov_b32 v37, 0 :: v_dual_mov_b32 v38, 0
	.loc	1 60 24                         ; persistent_matmul.py:60:24
	s_and_saveexec_b32 s3, vcc_lo
	s_cbranch_execz .LBB0_17
; %bb.16:                               ;   in Loop: Header=BB0_5 Depth=1
	.loc	1 57 61 is_stmt 1               ; persistent_matmul.py:57:61
	v_add_nc_u32_e32 v38, v96, v51
	s_delay_alu instid0(VALU_DEP_1) | instskip(NEXT) | instid1(VALU_DEP_1)
	.loc	1 57 30 is_stmt 0               ; persistent_matmul.py:57:30
	v_ashrrev_i32_e32 v39, 31, v38
	v_lshlrev_b64_e32 v[38:39], 1, v[38:39]
	s_delay_alu instid0(VALU_DEP_1) | instskip(SKIP_1) | instid1(VALU_DEP_2)
	v_add_co_u32 v38, s0, s24, v38
	s_wait_alu depctr_va_sdst(0)
	v_add_co_ci_u32_e64 v39, null, s25, v39, s0
	.loc	1 60 24 is_stmt 1               ; persistent_matmul.py:60:24
	global_load_u16 v38, v[38:39], off
.LBB0_17:                               ;   in Loop: Header=BB0_5 Depth=1
	.loc	1 0 24 is_stmt 0                ; persistent_matmul.py:0:24
	s_wait_alu depctr_sa_sdst(0)
	s_or_b32 exec_lo, exec_lo, s3
	.loc	1 60 24                         ; persistent_matmul.py:60:24
	s_and_saveexec_b32 s3, vcc_lo
	s_cbranch_execz .LBB0_19
; %bb.18:                               ;   in Loop: Header=BB0_5 Depth=1
	.loc	1 57 61 is_stmt 1               ; persistent_matmul.py:57:61
	v_add_nc_u32_e32 v39, v97, v51
	s_delay_alu instid0(VALU_DEP_1) | instskip(NEXT) | instid1(VALU_DEP_1)
	.loc	1 57 30 is_stmt 0               ; persistent_matmul.py:57:30
	v_ashrrev_i32_e32 v40, 31, v39
	v_lshlrev_b64_e32 v[39:40], 1, v[39:40]
	s_delay_alu instid0(VALU_DEP_1) | instskip(SKIP_1) | instid1(VALU_DEP_2)
	v_add_co_u32 v39, s0, s24, v39
	s_wait_alu depctr_va_sdst(0)
	v_add_co_ci_u32_e64 v40, null, s25, v40, s0
	.loc	1 60 24 is_stmt 1               ; persistent_matmul.py:60:24
	global_load_u16 v37, v[39:40], off
.LBB0_19:                               ;   in Loop: Header=BB0_5 Depth=1
	.loc	1 0 24 is_stmt 0                ; persistent_matmul.py:0:24
	s_wait_alu depctr_sa_sdst(0)
	s_or_b32 exec_lo, exec_lo, s3
	v_dual_mov_b32 v39, 0 :: v_dual_mov_b32 v40, 0
	.loc	1 60 24                         ; persistent_matmul.py:60:24
	s_and_saveexec_b32 s3, vcc_lo
	s_cbranch_execz .LBB0_21
; %bb.20:                               ;   in Loop: Header=BB0_5 Depth=1
	.loc	1 57 61 is_stmt 1               ; persistent_matmul.py:57:61
	v_add_nc_u32_e32 v40, v98, v51
	s_delay_alu instid0(VALU_DEP_1) | instskip(NEXT) | instid1(VALU_DEP_1)
	.loc	1 57 30 is_stmt 0               ; persistent_matmul.py:57:30
	v_ashrrev_i32_e32 v41, 31, v40
	v_lshlrev_b64_e32 v[40:41], 1, v[40:41]
	s_delay_alu instid0(VALU_DEP_1) | instskip(SKIP_1) | instid1(VALU_DEP_2)
	v_add_co_u32 v40, s0, s24, v40
	s_wait_alu depctr_va_sdst(0)
	v_add_co_ci_u32_e64 v41, null, s25, v41, s0
	.loc	1 60 24 is_stmt 1               ; persistent_matmul.py:60:24
	global_load_u16 v40, v[40:41], off
.LBB0_21:                               ;   in Loop: Header=BB0_5 Depth=1
	.loc	1 0 24 is_stmt 0                ; persistent_matmul.py:0:24
	s_wait_alu depctr_sa_sdst(0)
	s_or_b32 exec_lo, exec_lo, s3
	.loc	1 60 24                         ; persistent_matmul.py:60:24
	s_and_saveexec_b32 s3, vcc_lo
	s_cbranch_execz .LBB0_23
; %bb.22:                               ;   in Loop: Header=BB0_5 Depth=1
	.loc	1 57 61 is_stmt 1               ; persistent_matmul.py:57:61
	v_add_nc_u32_e32 v41, v99, v51
	s_delay_alu instid0(VALU_DEP_1) | instskip(NEXT) | instid1(VALU_DEP_1)
	.loc	1 57 30 is_stmt 0               ; persistent_matmul.py:57:30
	v_ashrrev_i32_e32 v42, 31, v41
	v_lshlrev_b64_e32 v[41:42], 1, v[41:42]
	s_delay_alu instid0(VALU_DEP_1) | instskip(SKIP_1) | instid1(VALU_DEP_2)
	v_add_co_u32 v41, s0, s24, v41
	s_wait_alu depctr_va_sdst(0)
	v_add_co_ci_u32_e64 v42, null, s25, v42, s0
	.loc	1 60 24 is_stmt 1               ; persistent_matmul.py:60:24
	global_load_u16 v39, v[41:42], off
.LBB0_23:                               ;   in Loop: Header=BB0_5 Depth=1
	.loc	1 0 24 is_stmt 0                ; persistent_matmul.py:0:24
	s_wait_alu depctr_sa_sdst(0)
	s_or_b32 exec_lo, exec_lo, s3
	v_dual_mov_b32 v41, 0 :: v_dual_mov_b32 v42, 0
	.loc	1 60 24                         ; persistent_matmul.py:60:24
	s_and_saveexec_b32 s3, vcc_lo
	s_cbranch_execz .LBB0_25
; %bb.24:                               ;   in Loop: Header=BB0_5 Depth=1
	.loc	1 57 61 is_stmt 1               ; persistent_matmul.py:57:61
	v_add_nc_u32_e32 v42, v100, v51
	s_delay_alu instid0(VALU_DEP_1) | instskip(NEXT) | instid1(VALU_DEP_1)
	.loc	1 57 30 is_stmt 0               ; persistent_matmul.py:57:30
	v_ashrrev_i32_e32 v43, 31, v42
	v_lshlrev_b64_e32 v[42:43], 1, v[42:43]
	s_delay_alu instid0(VALU_DEP_1) | instskip(SKIP_1) | instid1(VALU_DEP_2)
	v_add_co_u32 v42, s0, s24, v42
	s_wait_alu depctr_va_sdst(0)
	v_add_co_ci_u32_e64 v43, null, s25, v43, s0
	.loc	1 60 24 is_stmt 1               ; persistent_matmul.py:60:24
	global_load_u16 v42, v[42:43], off
.LBB0_25:                               ;   in Loop: Header=BB0_5 Depth=1
	.loc	1 0 24 is_stmt 0                ; persistent_matmul.py:0:24
	s_wait_alu depctr_sa_sdst(0)
	s_or_b32 exec_lo, exec_lo, s3
	.loc	1 60 24                         ; persistent_matmul.py:60:24
	s_and_saveexec_b32 s3, vcc_lo
	s_cbranch_execz .LBB0_27
; %bb.26:                               ;   in Loop: Header=BB0_5 Depth=1
	.loc	1 57 61 is_stmt 1               ; persistent_matmul.py:57:61
	v_add_nc_u32_e32 v43, v101, v51
	s_delay_alu instid0(VALU_DEP_1) | instskip(NEXT) | instid1(VALU_DEP_1)
	.loc	1 57 30 is_stmt 0               ; persistent_matmul.py:57:30
	v_ashrrev_i32_e32 v44, 31, v43
	v_lshlrev_b64_e32 v[43:44], 1, v[43:44]
	s_delay_alu instid0(VALU_DEP_1) | instskip(SKIP_1) | instid1(VALU_DEP_2)
	v_add_co_u32 v43, s0, s24, v43
	s_wait_alu depctr_va_sdst(0)
	v_add_co_ci_u32_e64 v44, null, s25, v44, s0
	.loc	1 60 24 is_stmt 1               ; persistent_matmul.py:60:24
	global_load_u16 v41, v[43:44], off
.LBB0_27:                               ;   in Loop: Header=BB0_5 Depth=1
	.loc	1 0 24 is_stmt 0                ; persistent_matmul.py:0:24
	s_wait_alu depctr_sa_sdst(0)
	s_or_b32 exec_lo, exec_lo, s3
	v_dual_mov_b32 v43, 0 :: v_dual_mov_b32 v44, 0
	.loc	1 60 24                         ; persistent_matmul.py:60:24
	s_and_saveexec_b32 s3, vcc_lo
	s_cbranch_execz .LBB0_29
; %bb.28:                               ;   in Loop: Header=BB0_5 Depth=1
	.loc	1 57 61 is_stmt 1               ; persistent_matmul.py:57:61
	v_add_nc_u32_e32 v44, v102, v51
	s_delay_alu instid0(VALU_DEP_1) | instskip(NEXT) | instid1(VALU_DEP_1)
	.loc	1 57 30 is_stmt 0               ; persistent_matmul.py:57:30
	v_ashrrev_i32_e32 v45, 31, v44
	v_lshlrev_b64_e32 v[44:45], 1, v[44:45]
	s_delay_alu instid0(VALU_DEP_1) | instskip(SKIP_1) | instid1(VALU_DEP_2)
	v_add_co_u32 v44, s0, s24, v44
	s_wait_alu depctr_va_sdst(0)
	v_add_co_ci_u32_e64 v45, null, s25, v45, s0
	.loc	1 60 24 is_stmt 1               ; persistent_matmul.py:60:24
	global_load_u16 v44, v[44:45], off
.LBB0_29:                               ;   in Loop: Header=BB0_5 Depth=1
	.loc	1 0 24 is_stmt 0                ; persistent_matmul.py:0:24
	s_wait_alu depctr_sa_sdst(0)
	s_or_b32 exec_lo, exec_lo, s3
	.loc	1 60 24                         ; persistent_matmul.py:60:24
	s_and_saveexec_b32 s3, vcc_lo
	s_cbranch_execz .LBB0_31
; %bb.30:                               ;   in Loop: Header=BB0_5 Depth=1
	.loc	1 57 61 is_stmt 1               ; persistent_matmul.py:57:61
	v_add_nc_u32_e32 v45, v103, v51
	s_delay_alu instid0(VALU_DEP_1) | instskip(NEXT) | instid1(VALU_DEP_1)
	.loc	1 57 30 is_stmt 0               ; persistent_matmul.py:57:30
	v_ashrrev_i32_e32 v46, 31, v45
	v_lshlrev_b64_e32 v[45:46], 1, v[45:46]
	s_delay_alu instid0(VALU_DEP_1) | instskip(SKIP_1) | instid1(VALU_DEP_2)
	v_add_co_u32 v45, s0, s24, v45
	s_wait_alu depctr_va_sdst(0)
	v_add_co_ci_u32_e64 v46, null, s25, v46, s0
	.loc	1 60 24 is_stmt 1               ; persistent_matmul.py:60:24
	global_load_u16 v43, v[45:46], off
.LBB0_31:                               ;   in Loop: Header=BB0_5 Depth=1
	.loc	1 0 24 is_stmt 0                ; persistent_matmul.py:0:24
	s_wait_alu depctr_sa_sdst(0)
	s_or_b32 exec_lo, exec_lo, s3
	v_dual_mov_b32 v45, 0 :: v_dual_mov_b32 v46, 0
	.loc	1 60 24                         ; persistent_matmul.py:60:24
	s_and_saveexec_b32 s3, vcc_lo
	s_cbranch_execz .LBB0_33
; %bb.32:                               ;   in Loop: Header=BB0_5 Depth=1
	.loc	1 57 61 is_stmt 1               ; persistent_matmul.py:57:61
	v_add_nc_u32_e32 v46, v104, v51
	s_delay_alu instid0(VALU_DEP_1) | instskip(NEXT) | instid1(VALU_DEP_1)
	.loc	1 57 30 is_stmt 0               ; persistent_matmul.py:57:30
	v_ashrrev_i32_e32 v47, 31, v46
	v_lshlrev_b64_e32 v[46:47], 1, v[46:47]
	s_delay_alu instid0(VALU_DEP_1) | instskip(SKIP_1) | instid1(VALU_DEP_2)
	v_add_co_u32 v46, s0, s24, v46
	s_wait_alu depctr_va_sdst(0)
	v_add_co_ci_u32_e64 v47, null, s25, v47, s0
	.loc	1 60 24 is_stmt 1               ; persistent_matmul.py:60:24
	global_load_u16 v46, v[46:47], off
.LBB0_33:                               ;   in Loop: Header=BB0_5 Depth=1
	.loc	1 0 24 is_stmt 0                ; persistent_matmul.py:0:24
	s_wait_alu depctr_sa_sdst(0)
	s_or_b32 exec_lo, exec_lo, s3
	.loc	1 60 24                         ; persistent_matmul.py:60:24
	s_and_saveexec_b32 s3, vcc_lo
	s_cbranch_execz .LBB0_35
; %bb.34:                               ;   in Loop: Header=BB0_5 Depth=1
	.loc	1 57 61 is_stmt 1               ; persistent_matmul.py:57:61
	v_add_nc_u32_e32 v47, v105, v51
	s_delay_alu instid0(VALU_DEP_1) | instskip(NEXT) | instid1(VALU_DEP_1)
	.loc	1 57 30 is_stmt 0               ; persistent_matmul.py:57:30
	v_ashrrev_i32_e32 v48, 31, v47
	v_lshlrev_b64_e32 v[47:48], 1, v[47:48]
	s_delay_alu instid0(VALU_DEP_1) | instskip(SKIP_1) | instid1(VALU_DEP_2)
	v_add_co_u32 v47, s0, s24, v47
	s_wait_alu depctr_va_sdst(0)
	v_add_co_ci_u32_e64 v48, null, s25, v48, s0
	.loc	1 60 24 is_stmt 1               ; persistent_matmul.py:60:24
	global_load_u16 v45, v[47:48], off
.LBB0_35:                               ;   in Loop: Header=BB0_5 Depth=1
	.loc	1 0 24 is_stmt 0                ; persistent_matmul.py:0:24
	s_wait_alu depctr_sa_sdst(0)
	s_or_b32 exec_lo, exec_lo, s3
	v_dual_mov_b32 v47, 0 :: v_dual_mov_b32 v48, 0
	.loc	1 60 24                         ; persistent_matmul.py:60:24
	s_and_saveexec_b32 s3, vcc_lo
	s_cbranch_execz .LBB0_37
; %bb.36:                               ;   in Loop: Header=BB0_5 Depth=1
	.loc	1 57 61 is_stmt 1               ; persistent_matmul.py:57:61
	v_add_nc_u32_e32 v48, v106, v51
	s_delay_alu instid0(VALU_DEP_1) | instskip(NEXT) | instid1(VALU_DEP_1)
	.loc	1 57 30 is_stmt 0               ; persistent_matmul.py:57:30
	v_ashrrev_i32_e32 v49, 31, v48
	v_lshlrev_b64_e32 v[48:49], 1, v[48:49]
	s_delay_alu instid0(VALU_DEP_1) | instskip(SKIP_1) | instid1(VALU_DEP_2)
	v_add_co_u32 v48, s0, s24, v48
	s_wait_alu depctr_va_sdst(0)
	v_add_co_ci_u32_e64 v49, null, s25, v49, s0
	.loc	1 60 24 is_stmt 1               ; persistent_matmul.py:60:24
	global_load_u16 v48, v[48:49], off
.LBB0_37:                               ;   in Loop: Header=BB0_5 Depth=1
	.loc	1 0 24 is_stmt 0                ; persistent_matmul.py:0:24
	s_wait_alu depctr_sa_sdst(0)
	s_or_b32 exec_lo, exec_lo, s3
	.loc	1 60 24                         ; persistent_matmul.py:60:24
	s_and_saveexec_b32 s3, vcc_lo
	s_cbranch_execz .LBB0_39
; %bb.38:                               ;   in Loop: Header=BB0_5 Depth=1
	.loc	1 57 61 is_stmt 1               ; persistent_matmul.py:57:61
	v_add_nc_u32_e32 v49, v107, v51
	s_delay_alu instid0(VALU_DEP_1) | instskip(NEXT) | instid1(VALU_DEP_1)
	.loc	1 57 30 is_stmt 0               ; persistent_matmul.py:57:30
	v_ashrrev_i32_e32 v50, 31, v49
	v_lshlrev_b64_e32 v[49:50], 1, v[49:50]
	s_delay_alu instid0(VALU_DEP_1) | instskip(SKIP_1) | instid1(VALU_DEP_2)
	v_add_co_u32 v49, s0, s24, v49
	s_wait_alu depctr_va_sdst(0)
	v_add_co_ci_u32_e64 v50, null, s25, v50, s0
	.loc	1 60 24 is_stmt 1               ; persistent_matmul.py:60:24
	global_load_u16 v47, v[49:50], off
.LBB0_39:                               ;   in Loop: Header=BB0_5 Depth=1
	.loc	1 0 24 is_stmt 0                ; persistent_matmul.py:0:24
	s_wait_alu depctr_sa_sdst(0)
	s_or_b32 exec_lo, exec_lo, s3
	v_dual_mov_b32 v49, 0 :: v_dual_mov_b32 v50, 0
	.loc	1 60 24                         ; persistent_matmul.py:60:24
	s_and_saveexec_b32 s3, vcc_lo
	s_cbranch_execz .LBB0_41
; %bb.40:                               ;   in Loop: Header=BB0_5 Depth=1
	.loc	1 57 61 is_stmt 1               ; persistent_matmul.py:57:61
	v_add_nc_u32_e32 v52, v108, v51
	s_delay_alu instid0(VALU_DEP_1) | instskip(NEXT) | instid1(VALU_DEP_1)
	.loc	1 57 30 is_stmt 0               ; persistent_matmul.py:57:30
	v_ashrrev_i32_e32 v53, 31, v52
	v_lshlrev_b64_e32 v[52:53], 1, v[52:53]
	s_delay_alu instid0(VALU_DEP_1) | instskip(SKIP_1) | instid1(VALU_DEP_2)
	v_add_co_u32 v52, s0, s24, v52
	s_wait_alu depctr_va_sdst(0)
	v_add_co_ci_u32_e64 v53, null, s25, v53, s0
	.loc	1 60 24 is_stmt 1               ; persistent_matmul.py:60:24
	global_load_u16 v50, v[52:53], off
.LBB0_41:                               ;   in Loop: Header=BB0_5 Depth=1
	.loc	1 0 24 is_stmt 0                ; persistent_matmul.py:0:24
	s_wait_alu depctr_sa_sdst(0)
	s_or_b32 exec_lo, exec_lo, s3
	.loc	1 60 24                         ; persistent_matmul.py:60:24
	s_and_saveexec_b32 s3, vcc_lo
	s_cbranch_execz .LBB0_43
; %bb.42:                               ;   in Loop: Header=BB0_5 Depth=1
	.loc	1 57 61 is_stmt 1               ; persistent_matmul.py:57:61
	v_add_nc_u32_e32 v52, v109, v51
	s_delay_alu instid0(VALU_DEP_1) | instskip(NEXT) | instid1(VALU_DEP_1)
	.loc	1 57 30 is_stmt 0               ; persistent_matmul.py:57:30
	v_ashrrev_i32_e32 v53, 31, v52
	v_lshlrev_b64_e32 v[52:53], 1, v[52:53]
	s_delay_alu instid0(VALU_DEP_1) | instskip(SKIP_1) | instid1(VALU_DEP_2)
	v_add_co_u32 v52, s0, s24, v52
	s_wait_alu depctr_va_sdst(0)
	v_add_co_ci_u32_e64 v53, null, s25, v53, s0
	.loc	1 60 24 is_stmt 1               ; persistent_matmul.py:60:24
	global_load_u16 v49, v[52:53], off
.LBB0_43:                               ;   in Loop: Header=BB0_5 Depth=1
	.loc	1 0 24 is_stmt 0                ; persistent_matmul.py:0:24
	s_wait_alu depctr_sa_sdst(0)
	s_or_b32 exec_lo, exec_lo, s3
	v_dual_mov_b32 v52, 0 :: v_dual_mov_b32 v53, 0
	.loc	1 60 24                         ; persistent_matmul.py:60:24
	s_and_saveexec_b32 s3, vcc_lo
	s_cbranch_execz .LBB0_45
; %bb.44:                               ;   in Loop: Header=BB0_5 Depth=1
	.loc	1 57 61 is_stmt 1               ; persistent_matmul.py:57:61
	v_add_nc_u32_e32 v53, v110, v51
	s_delay_alu instid0(VALU_DEP_1) | instskip(NEXT) | instid1(VALU_DEP_1)
	.loc	1 57 30 is_stmt 0               ; persistent_matmul.py:57:30
	v_ashrrev_i32_e32 v54, 31, v53
	v_lshlrev_b64_e32 v[53:54], 1, v[53:54]
	s_delay_alu instid0(VALU_DEP_1) | instskip(SKIP_1) | instid1(VALU_DEP_2)
	v_add_co_u32 v53, s0, s24, v53
	s_wait_alu depctr_va_sdst(0)
	v_add_co_ci_u32_e64 v54, null, s25, v54, s0
	.loc	1 60 24 is_stmt 1               ; persistent_matmul.py:60:24
	global_load_u16 v53, v[53:54], off
.LBB0_45:                               ;   in Loop: Header=BB0_5 Depth=1
	.loc	1 0 24 is_stmt 0                ; persistent_matmul.py:0:24
	s_wait_alu depctr_sa_sdst(0)
	s_or_b32 exec_lo, exec_lo, s3
	.loc	1 60 24                         ; persistent_matmul.py:60:24
	s_and_saveexec_b32 s3, vcc_lo
	s_cbranch_execz .LBB0_47
; %bb.46:                               ;   in Loop: Header=BB0_5 Depth=1
	.loc	1 57 61 is_stmt 1               ; persistent_matmul.py:57:61
	v_add_nc_u32_e32 v54, v111, v51
	s_delay_alu instid0(VALU_DEP_1) | instskip(NEXT) | instid1(VALU_DEP_1)
	.loc	1 57 30 is_stmt 0               ; persistent_matmul.py:57:30
	v_ashrrev_i32_e32 v55, 31, v54
	v_lshlrev_b64_e32 v[54:55], 1, v[54:55]
	s_delay_alu instid0(VALU_DEP_1) | instskip(SKIP_1) | instid1(VALU_DEP_2)
	v_add_co_u32 v54, s0, s24, v54
	s_wait_alu depctr_va_sdst(0)
	v_add_co_ci_u32_e64 v55, null, s25, v55, s0
	.loc	1 60 24 is_stmt 1               ; persistent_matmul.py:60:24
	global_load_u16 v52, v[54:55], off
.LBB0_47:                               ;   in Loop: Header=BB0_5 Depth=1
	.loc	1 0 24 is_stmt 0                ; persistent_matmul.py:0:24
	s_wait_alu depctr_sa_sdst(0)
	s_or_b32 exec_lo, exec_lo, s3
	v_dual_mov_b32 v54, 0 :: v_dual_mov_b32 v55, 0
	.loc	1 60 24                         ; persistent_matmul.py:60:24
	s_and_saveexec_b32 s3, vcc_lo
	s_cbranch_execz .LBB0_49
; %bb.48:                               ;   in Loop: Header=BB0_5 Depth=1
	.loc	1 57 61 is_stmt 1               ; persistent_matmul.py:57:61
	v_add_nc_u32_e32 v55, v112, v51
	s_delay_alu instid0(VALU_DEP_1) | instskip(NEXT) | instid1(VALU_DEP_1)
	.loc	1 57 30 is_stmt 0               ; persistent_matmul.py:57:30
	v_ashrrev_i32_e32 v56, 31, v55
	v_lshlrev_b64_e32 v[55:56], 1, v[55:56]
	s_delay_alu instid0(VALU_DEP_1) | instskip(SKIP_1) | instid1(VALU_DEP_2)
	v_add_co_u32 v55, s0, s24, v55
	s_wait_alu depctr_va_sdst(0)
	v_add_co_ci_u32_e64 v56, null, s25, v56, s0
	.loc	1 60 24 is_stmt 1               ; persistent_matmul.py:60:24
	global_load_u16 v55, v[55:56], off
.LBB0_49:                               ;   in Loop: Header=BB0_5 Depth=1
	.loc	1 0 24 is_stmt 0                ; persistent_matmul.py:0:24
	s_wait_alu depctr_sa_sdst(0)
	s_or_b32 exec_lo, exec_lo, s3
	.loc	1 60 24                         ; persistent_matmul.py:60:24
	s_and_saveexec_b32 s3, vcc_lo
	s_cbranch_execz .LBB0_51
; %bb.50:                               ;   in Loop: Header=BB0_5 Depth=1
	.loc	1 57 61 is_stmt 1               ; persistent_matmul.py:57:61
	v_add_nc_u32_e32 v56, v113, v51
	s_delay_alu instid0(VALU_DEP_1) | instskip(NEXT) | instid1(VALU_DEP_1)
	.loc	1 57 30 is_stmt 0               ; persistent_matmul.py:57:30
	v_ashrrev_i32_e32 v57, 31, v56
	v_lshlrev_b64_e32 v[56:57], 1, v[56:57]
	s_delay_alu instid0(VALU_DEP_1) | instskip(SKIP_1) | instid1(VALU_DEP_2)
	v_add_co_u32 v56, s0, s24, v56
	s_wait_alu depctr_va_sdst(0)
	v_add_co_ci_u32_e64 v57, null, s25, v57, s0
	.loc	1 60 24 is_stmt 1               ; persistent_matmul.py:60:24
	global_load_u16 v54, v[56:57], off
.LBB0_51:                               ;   in Loop: Header=BB0_5 Depth=1
	.loc	1 0 24 is_stmt 0                ; persistent_matmul.py:0:24
	s_wait_alu depctr_sa_sdst(0)
	s_or_b32 exec_lo, exec_lo, s3
	v_dual_mov_b32 v56, 0 :: v_dual_mov_b32 v57, 0
	.loc	1 60 24                         ; persistent_matmul.py:60:24
	s_and_saveexec_b32 s3, vcc_lo
	s_cbranch_execz .LBB0_53
; %bb.52:                               ;   in Loop: Header=BB0_5 Depth=1
	.loc	1 57 61 is_stmt 1               ; persistent_matmul.py:57:61
	v_add_nc_u32_e32 v57, v114, v51
	s_delay_alu instid0(VALU_DEP_1) | instskip(NEXT) | instid1(VALU_DEP_1)
	.loc	1 57 30 is_stmt 0               ; persistent_matmul.py:57:30
	v_ashrrev_i32_e32 v58, 31, v57
	v_lshlrev_b64_e32 v[57:58], 1, v[57:58]
	s_delay_alu instid0(VALU_DEP_1) | instskip(SKIP_1) | instid1(VALU_DEP_2)
	v_add_co_u32 v57, s0, s24, v57
	s_wait_alu depctr_va_sdst(0)
	v_add_co_ci_u32_e64 v58, null, s25, v58, s0
	.loc	1 60 24 is_stmt 1               ; persistent_matmul.py:60:24
	global_load_u16 v57, v[57:58], off
.LBB0_53:                               ;   in Loop: Header=BB0_5 Depth=1
	.loc	1 0 24 is_stmt 0                ; persistent_matmul.py:0:24
	s_wait_alu depctr_sa_sdst(0)
	s_or_b32 exec_lo, exec_lo, s3
	.loc	1 60 24                         ; persistent_matmul.py:60:24
	s_and_saveexec_b32 s3, vcc_lo
	s_cbranch_execz .LBB0_55
; %bb.54:                               ;   in Loop: Header=BB0_5 Depth=1
	.loc	1 57 61 is_stmt 1               ; persistent_matmul.py:57:61
	v_add_nc_u32_e32 v58, v115, v51
	s_delay_alu instid0(VALU_DEP_1) | instskip(NEXT) | instid1(VALU_DEP_1)
	.loc	1 57 30 is_stmt 0               ; persistent_matmul.py:57:30
	v_ashrrev_i32_e32 v59, 31, v58
	v_lshlrev_b64_e32 v[58:59], 1, v[58:59]
	s_delay_alu instid0(VALU_DEP_1) | instskip(SKIP_1) | instid1(VALU_DEP_2)
	v_add_co_u32 v58, s0, s24, v58
	s_wait_alu depctr_va_sdst(0)
	v_add_co_ci_u32_e64 v59, null, s25, v59, s0
	.loc	1 60 24 is_stmt 1               ; persistent_matmul.py:60:24
	global_load_u16 v56, v[58:59], off
.LBB0_55:                               ;   in Loop: Header=BB0_5 Depth=1
	.loc	1 0 24 is_stmt 0                ; persistent_matmul.py:0:24
	s_wait_alu depctr_sa_sdst(0)
	s_or_b32 exec_lo, exec_lo, s3
	v_dual_mov_b32 v58, 0 :: v_dual_mov_b32 v59, 0
	.loc	1 60 24                         ; persistent_matmul.py:60:24
	s_and_saveexec_b32 s3, vcc_lo
	s_cbranch_execz .LBB0_57
; %bb.56:                               ;   in Loop: Header=BB0_5 Depth=1
	.loc	1 57 61 is_stmt 1               ; persistent_matmul.py:57:61
	v_add_nc_u32_e32 v59, v116, v51
	s_delay_alu instid0(VALU_DEP_1) | instskip(NEXT) | instid1(VALU_DEP_1)
	.loc	1 57 30 is_stmt 0               ; persistent_matmul.py:57:30
	v_ashrrev_i32_e32 v60, 31, v59
	v_lshlrev_b64_e32 v[59:60], 1, v[59:60]
	s_delay_alu instid0(VALU_DEP_1) | instskip(SKIP_1) | instid1(VALU_DEP_2)
	v_add_co_u32 v59, s0, s24, v59
	s_wait_alu depctr_va_sdst(0)
	v_add_co_ci_u32_e64 v60, null, s25, v60, s0
	.loc	1 60 24 is_stmt 1               ; persistent_matmul.py:60:24
	global_load_u16 v59, v[59:60], off
.LBB0_57:                               ;   in Loop: Header=BB0_5 Depth=1
	.loc	1 0 24 is_stmt 0                ; persistent_matmul.py:0:24
	s_wait_alu depctr_sa_sdst(0)
	s_or_b32 exec_lo, exec_lo, s3
	.loc	1 60 24                         ; persistent_matmul.py:60:24
	s_and_saveexec_b32 s3, vcc_lo
	s_cbranch_execz .LBB0_59
; %bb.58:                               ;   in Loop: Header=BB0_5 Depth=1
	.loc	1 57 61 is_stmt 1               ; persistent_matmul.py:57:61
	v_add_nc_u32_e32 v60, v117, v51
	s_delay_alu instid0(VALU_DEP_1) | instskip(NEXT) | instid1(VALU_DEP_1)
	.loc	1 57 30 is_stmt 0               ; persistent_matmul.py:57:30
	v_ashrrev_i32_e32 v61, 31, v60
	v_lshlrev_b64_e32 v[60:61], 1, v[60:61]
	s_delay_alu instid0(VALU_DEP_1) | instskip(SKIP_1) | instid1(VALU_DEP_2)
	v_add_co_u32 v60, s0, s24, v60
	s_wait_alu depctr_va_sdst(0)
	v_add_co_ci_u32_e64 v61, null, s25, v61, s0
	.loc	1 60 24 is_stmt 1               ; persistent_matmul.py:60:24
	global_load_u16 v58, v[60:61], off
.LBB0_59:                               ;   in Loop: Header=BB0_5 Depth=1
	.loc	1 0 24 is_stmt 0                ; persistent_matmul.py:0:24
	s_wait_alu depctr_sa_sdst(0)
	s_or_b32 exec_lo, exec_lo, s3
	v_dual_mov_b32 v60, 0 :: v_dual_mov_b32 v61, 0
	.loc	1 60 24                         ; persistent_matmul.py:60:24
	s_and_saveexec_b32 s3, vcc_lo
	s_cbranch_execz .LBB0_61
; %bb.60:                               ;   in Loop: Header=BB0_5 Depth=1
	.loc	1 57 61 is_stmt 1               ; persistent_matmul.py:57:61
	v_add_nc_u32_e32 v61, v118, v51
	s_delay_alu instid0(VALU_DEP_1) | instskip(NEXT) | instid1(VALU_DEP_1)
	.loc	1 57 30 is_stmt 0               ; persistent_matmul.py:57:30
	v_ashrrev_i32_e32 v62, 31, v61
	v_lshlrev_b64_e32 v[61:62], 1, v[61:62]
	s_delay_alu instid0(VALU_DEP_1) | instskip(SKIP_1) | instid1(VALU_DEP_2)
	v_add_co_u32 v61, s0, s24, v61
	s_wait_alu depctr_va_sdst(0)
	v_add_co_ci_u32_e64 v62, null, s25, v62, s0
	.loc	1 60 24 is_stmt 1               ; persistent_matmul.py:60:24
	global_load_u16 v61, v[61:62], off
.LBB0_61:                               ;   in Loop: Header=BB0_5 Depth=1
	.loc	1 0 24 is_stmt 0                ; persistent_matmul.py:0:24
	s_wait_alu depctr_sa_sdst(0)
	s_or_b32 exec_lo, exec_lo, s3
	.loc	1 60 24                         ; persistent_matmul.py:60:24
	s_and_saveexec_b32 s3, vcc_lo
	s_cbranch_execz .LBB0_63
; %bb.62:                               ;   in Loop: Header=BB0_5 Depth=1
	.loc	1 57 61 is_stmt 1               ; persistent_matmul.py:57:61
	v_add_nc_u32_e32 v62, v119, v51
	s_delay_alu instid0(VALU_DEP_1) | instskip(NEXT) | instid1(VALU_DEP_1)
	.loc	1 57 30 is_stmt 0               ; persistent_matmul.py:57:30
	v_ashrrev_i32_e32 v63, 31, v62
	v_lshlrev_b64_e32 v[62:63], 1, v[62:63]
	s_delay_alu instid0(VALU_DEP_1) | instskip(SKIP_1) | instid1(VALU_DEP_2)
	v_add_co_u32 v62, s0, s24, v62
	s_wait_alu depctr_va_sdst(0)
	v_add_co_ci_u32_e64 v63, null, s25, v63, s0
	.loc	1 60 24 is_stmt 1               ; persistent_matmul.py:60:24
	global_load_u16 v60, v[62:63], off
.LBB0_63:                               ;   in Loop: Header=BB0_5 Depth=1
	.loc	1 0 24 is_stmt 0                ; persistent_matmul.py:0:24
	s_wait_alu depctr_sa_sdst(0)
	s_or_b32 exec_lo, exec_lo, s3
	v_dual_mov_b32 v62, 0 :: v_dual_mov_b32 v63, 0
	.loc	1 60 24                         ; persistent_matmul.py:60:24
	s_and_saveexec_b32 s3, vcc_lo
	s_cbranch_execz .LBB0_65
; %bb.64:                               ;   in Loop: Header=BB0_5 Depth=1
	.loc	1 57 61 is_stmt 1               ; persistent_matmul.py:57:61
	v_add_nc_u32_e32 v63, v120, v51
	s_delay_alu instid0(VALU_DEP_1) | instskip(NEXT) | instid1(VALU_DEP_1)
	.loc	1 57 30 is_stmt 0               ; persistent_matmul.py:57:30
	v_ashrrev_i32_e32 v64, 31, v63
	v_lshlrev_b64_e32 v[63:64], 1, v[63:64]
	s_delay_alu instid0(VALU_DEP_1) | instskip(SKIP_1) | instid1(VALU_DEP_2)
	v_add_co_u32 v63, s0, s24, v63
	s_wait_alu depctr_va_sdst(0)
	v_add_co_ci_u32_e64 v64, null, s25, v64, s0
	.loc	1 60 24 is_stmt 1               ; persistent_matmul.py:60:24
	global_load_u16 v63, v[63:64], off
.LBB0_65:                               ;   in Loop: Header=BB0_5 Depth=1
	.loc	1 0 24 is_stmt 0                ; persistent_matmul.py:0:24
	s_wait_alu depctr_sa_sdst(0)
	s_or_b32 exec_lo, exec_lo, s3
	.loc	1 60 24                         ; persistent_matmul.py:60:24
	s_and_saveexec_b32 s3, vcc_lo
	s_cbranch_execz .LBB0_67
; %bb.66:                               ;   in Loop: Header=BB0_5 Depth=1
	.loc	1 57 61 is_stmt 1               ; persistent_matmul.py:57:61
	v_add_nc_u32_e32 v124, v121, v51
	s_delay_alu instid0(VALU_DEP_1) | instskip(NEXT) | instid1(VALU_DEP_1)
	.loc	1 57 30 is_stmt 0               ; persistent_matmul.py:57:30
	v_ashrrev_i32_e32 v125, 31, v124
	v_lshlrev_b64_e32 v[124:125], 1, v[124:125]
	s_delay_alu instid0(VALU_DEP_1) | instskip(SKIP_1) | instid1(VALU_DEP_2)
	v_add_co_u32 v124, s0, s24, v124
	s_wait_alu depctr_va_sdst(0)
	v_add_co_ci_u32_e64 v125, null, s25, v125, s0
	.loc	1 60 24 is_stmt 1               ; persistent_matmul.py:60:24
	global_load_u16 v62, v[124:125], off
.LBB0_67:                               ;   in Loop: Header=BB0_5 Depth=1
	.loc	1 0 24 is_stmt 0                ; persistent_matmul.py:0:24
	s_wait_alu depctr_sa_sdst(0)
	s_or_b32 exec_lo, exec_lo, s3
	v_mov_b32_e32 v64, 0
	v_mov_b32_e32 v124, 0
	.loc	1 60 24                         ; persistent_matmul.py:60:24
	s_and_saveexec_b32 s3, vcc_lo
	s_cbranch_execz .LBB0_69
; %bb.68:                               ;   in Loop: Header=BB0_5 Depth=1
	.loc	1 57 61 is_stmt 1               ; persistent_matmul.py:57:61
	v_add_nc_u32_e32 v124, v122, v51
	s_delay_alu instid0(VALU_DEP_1) | instskip(NEXT) | instid1(VALU_DEP_1)
	.loc	1 57 30 is_stmt 0               ; persistent_matmul.py:57:30
	v_ashrrev_i32_e32 v125, 31, v124
	v_lshlrev_b64_e32 v[124:125], 1, v[124:125]
	s_delay_alu instid0(VALU_DEP_1) | instskip(SKIP_1) | instid1(VALU_DEP_2)
	v_add_co_u32 v124, s0, s24, v124
	s_wait_alu depctr_va_sdst(0)
	v_add_co_ci_u32_e64 v125, null, s25, v125, s0
	.loc	1 60 24 is_stmt 1               ; persistent_matmul.py:60:24
	global_load_u16 v124, v[124:125], off
.LBB0_69:                               ;   in Loop: Header=BB0_5 Depth=1
	.loc	1 0 24 is_stmt 0                ; persistent_matmul.py:0:24
	s_wait_alu depctr_sa_sdst(0)
	s_or_b32 exec_lo, exec_lo, s3
	.loc	1 60 24                         ; persistent_matmul.py:60:24
	s_and_saveexec_b32 s0, vcc_lo
	s_cbranch_execz .LBB0_71
; %bb.70:                               ;   in Loop: Header=BB0_5 Depth=1
	.loc	1 57 61 is_stmt 1               ; persistent_matmul.py:57:61
	v_add_nc_u32_e32 v125, v123, v51
	s_delay_alu instid0(VALU_DEP_1) | instskip(NEXT) | instid1(VALU_DEP_1)
	.loc	1 57 30 is_stmt 0               ; persistent_matmul.py:57:30
	v_ashrrev_i32_e32 v126, 31, v125
	v_lshlrev_b64_e32 v[125:126], 1, v[125:126]
	s_delay_alu instid0(VALU_DEP_1) | instskip(SKIP_1) | instid1(VALU_DEP_2)
	v_add_co_u32 v125, vcc_lo, s24, v125
	s_wait_alu depctr_va_vcc(0)
	v_add_co_ci_u32_e64 v126, null, s25, v126, vcc_lo
	.loc	1 60 24 is_stmt 1               ; persistent_matmul.py:60:24
	global_load_u16 v64, v[125:126], off
.LBB0_71:                               ;   in Loop: Header=BB0_5 Depth=1
	.loc	1 0 24 is_stmt 0                ; persistent_matmul.py:0:24
	s_wait_alu depctr_sa_sdst(0)
	s_or_b32 exec_lo, exec_lo, s0
	v_mov_b32_e32 v51, 0
	v_mov_b32_e32 v125, 0
	.loc	1 61 64 is_stmt 1               ; persistent_matmul.py:61:64
	s_cmp_ge_i32 s42, s2
	.loc	1 61 24 is_stmt 0               ; persistent_matmul.py:61:24
	s_cbranch_scc0 .LBB0_137
; %bb.72:                               ;   in Loop: Header=BB0_5 Depth=1
	.loc	1 61 64                         ; persistent_matmul.py:61:64
	s_cmp_ge_i32 s43, s2
	.loc	1 61 24                         ; persistent_matmul.py:61:24
	s_cbranch_scc0 .LBB0_138
.LBB0_73:                               ;   in Loop: Header=BB0_5 Depth=1
	.loc	1 0 24                          ; persistent_matmul.py:0:24
	v_dual_mov_b32 v126, 0 :: v_dual_mov_b32 v127, 0
	.loc	1 61 64                         ; persistent_matmul.py:61:64
	s_cmp_ge_i32 s44, s2
	.loc	1 61 24                         ; persistent_matmul.py:61:24
	s_cbranch_scc0 .LBB0_139
.LBB0_74:                               ;   in Loop: Header=BB0_5 Depth=1
	.loc	1 61 64                         ; persistent_matmul.py:61:64
	s_cmp_ge_i32 s45, s2
	.loc	1 61 24                         ; persistent_matmul.py:61:24
	s_cbranch_scc0 .LBB0_140
.LBB0_75:                               ;   in Loop: Header=BB0_5 Depth=1
	.loc	1 0 24                          ; persistent_matmul.py:0:24
	v_dual_mov_b32 v128, 0 :: v_dual_mov_b32 v129, 0
	.loc	1 61 64                         ; persistent_matmul.py:61:64
	s_cmp_ge_i32 s46, s2
	.loc	1 61 24                         ; persistent_matmul.py:61:24
	s_cbranch_scc0 .LBB0_141
.LBB0_76:                               ;   in Loop: Header=BB0_5 Depth=1
	.loc	1 61 64                         ; persistent_matmul.py:61:64
	s_cmp_ge_i32 s47, s2
	.loc	1 61 24                         ; persistent_matmul.py:61:24
	s_cbranch_scc0 .LBB0_142
.LBB0_77:                               ;   in Loop: Header=BB0_5 Depth=1
	.loc	1 0 24                          ; persistent_matmul.py:0:24
	v_dual_mov_b32 v130, 0 :: v_dual_mov_b32 v131, 0
	.loc	1 61 64                         ; persistent_matmul.py:61:64
	s_cmp_ge_i32 s48, s2
	.loc	1 61 24                         ; persistent_matmul.py:61:24
	s_cbranch_scc0 .LBB0_143
.LBB0_78:                               ;   in Loop: Header=BB0_5 Depth=1
	.loc	1 61 64                         ; persistent_matmul.py:61:64
	s_cmp_ge_i32 s49, s2
	.loc	1 61 24                         ; persistent_matmul.py:61:24
	s_cbranch_scc0 .LBB0_144
.LBB0_79:                               ;   in Loop: Header=BB0_5 Depth=1
	.loc	1 0 24                          ; persistent_matmul.py:0:24
	v_dual_mov_b32 v132, 0 :: v_dual_mov_b32 v133, 0
	.loc	1 61 64                         ; persistent_matmul.py:61:64
	s_cmp_ge_i32 s50, s2
	.loc	1 61 24                         ; persistent_matmul.py:61:24
	s_cbranch_scc0 .LBB0_145
.LBB0_80:                               ;   in Loop: Header=BB0_5 Depth=1
	.loc	1 61 64                         ; persistent_matmul.py:61:64
	s_cmp_ge_i32 s52, s2
	.loc	1 61 24                         ; persistent_matmul.py:61:24
	s_cbranch_scc0 .LBB0_146
.LBB0_81:                               ;   in Loop: Header=BB0_5 Depth=1
	.loc	1 0 24                          ; persistent_matmul.py:0:24
	v_dual_mov_b32 v134, 0 :: v_dual_mov_b32 v135, 0
	.loc	1 61 64                         ; persistent_matmul.py:61:64
	s_cmp_ge_i32 s53, s2
	.loc	1 61 24                         ; persistent_matmul.py:61:24
	s_cbranch_scc0 .LBB0_147
.LBB0_82:                               ;   in Loop: Header=BB0_5 Depth=1
	.loc	1 61 64                         ; persistent_matmul.py:61:64
	s_cmp_ge_i32 s54, s2
	.loc	1 61 24                         ; persistent_matmul.py:61:24
	s_cbranch_scc0 .LBB0_148
.LBB0_83:                               ;   in Loop: Header=BB0_5 Depth=1
	.loc	1 0 24                          ; persistent_matmul.py:0:24
	v_dual_mov_b32 v136, 0 :: v_dual_mov_b32 v137, 0
	.loc	1 61 64                         ; persistent_matmul.py:61:64
	s_cmp_ge_i32 s55, s2
	.loc	1 61 24                         ; persistent_matmul.py:61:24
	s_cbranch_scc0 .LBB0_149
.LBB0_84:                               ;   in Loop: Header=BB0_5 Depth=1
	.loc	1 61 64                         ; persistent_matmul.py:61:64
	s_cmp_ge_i32 s56, s2
	.loc	1 61 24                         ; persistent_matmul.py:61:24
	s_cbranch_scc0 .LBB0_150
.LBB0_85:                               ;   in Loop: Header=BB0_5 Depth=1
	.loc	1 0 24                          ; persistent_matmul.py:0:24
	v_dual_mov_b32 v138, 0 :: v_dual_mov_b32 v139, 0
	.loc	1 61 64                         ; persistent_matmul.py:61:64
	s_cmp_ge_i32 s57, s2
	.loc	1 61 24                         ; persistent_matmul.py:61:24
	s_cbranch_scc0 .LBB0_151
.LBB0_86:                               ;   in Loop: Header=BB0_5 Depth=1
	.loc	1 61 64                         ; persistent_matmul.py:61:64
	s_cmp_ge_i32 s58, s2
	.loc	1 61 24                         ; persistent_matmul.py:61:24
	s_cbranch_scc1 .LBB0_88
.LBB0_87:                               ;   in Loop: Header=BB0_5 Depth=1
	.loc	1 56 41 is_stmt 1               ; persistent_matmul.py:56:41
	s_or_b32 s0, s1, s58
	.loc	1 58 60                         ; persistent_matmul.py:58:60
	s_wait_loadcnt 0x0
	s_wait_alu depctr_sa_sdst(0)
	v_mad_co_u64_u32 v[140:141], null, s0, s30, v[32:33]
	s_delay_alu instid0(VALU_DEP_1) | instskip(NEXT) | instid1(VALU_DEP_1)
	.loc	1 58 30 is_stmt 0               ; persistent_matmul.py:58:30
	v_ashrrev_i32_e32 v141, 31, v140
	v_lshlrev_b64_e32 v[140:141], 1, v[140:141]
	s_delay_alu instid0(VALU_DEP_1) | instskip(SKIP_1) | instid1(VALU_DEP_2)
	v_add_co_u32 v140, vcc_lo, s26, v140
	s_wait_alu depctr_va_vcc(0)
	v_add_co_ci_u32_e64 v141, null, s27, v141, vcc_lo
	.loc	1 61 24 is_stmt 1               ; persistent_matmul.py:61:24
	global_load_u16 v138, v[140:141], off
.LBB0_88:                               ;   in Loop: Header=BB0_5 Depth=1
	.loc	1 60 24                         ; persistent_matmul.py:60:24
	s_wait_loadcnt 0x0
	s_barrier_signal -1
	v_add_nc_u32_e32 v140, 0, v85
	.loc	1 43 59                         ; persistent_matmul.py:43:59
	s_cmp_eq_u32 s61, s40
	s_cselect_b32 s63, -1, 0
	s_cmp_lg_u32 s61, s40
	.loc	1 60 24                         ; persistent_matmul.py:60:24
	s_barrier_wait -1
	global_inv scope:SCOPE_SE
	ds_store_b16 v140, v34
	ds_store_b16 v140, v36 offset:1024
	ds_store_b16 v140, v38 offset:2048
	;; [unrolled: 1-line block ×31, first 2 shown]
	s_wait_loadcnt_dscnt 0x0
	s_barrier_signal -1
	v_add_nc_u32_e32 v37, 0, v86
	.loc	1 61 24                         ; persistent_matmul.py:61:24
	v_add_nc_u32_e32 v49, 0, v84
	.loc	1 60 24                         ; persistent_matmul.py:60:24
	s_barrier_wait -1
	global_inv scope:SCOPE_SE
	ds_load_b128 v[33:36], v37
	ds_load_b128 v[37:40], v37 offset:8192
	ds_load_b128 v[41:44], v89
	ds_load_b128 v[45:48], v89 offset:8192
	;; [unrolled: 2-line block ×4, first 2 shown]
	.loc	1 61 24                         ; persistent_matmul.py:61:24
	s_wait_loadcnt_dscnt 0x0
	s_barrier_signal -1
	s_barrier_wait -1
	global_inv scope:SCOPE_SE
	ds_store_b16 v49, v125
	ds_store_b16 v49, v51 offset:512
	ds_store_b16 v49, v127 offset:1024
	;; [unrolled: 1-line block ×15, first 2 shown]
	s_wait_loadcnt_dscnt 0x0
	s_barrier_signal -1
	s_barrier_wait -1
	global_inv scope:SCOPE_SE
	ds_load_u16 v125, v87 offset:2368
	ds_load_u16 v130, v87 offset:2560
	;; [unrolled: 1-line block ×7, first 2 shown]
	ds_load_u16 v132, v87
	ds_load_u16 v136, v87 offset:64
	ds_load_u16 v131, v87 offset:2816
	;; [unrolled: 1-line block ×9, first 2 shown]
	s_wait_dscnt 0xf
	ds_load_u16_d16_hi v130, v87 offset:2688
	ds_load_u16_d16_hi v125, v87 offset:2496
	s_wait_dscnt 0x10
	ds_load_u16_d16_hi v133, v87 offset:384
	ds_load_u16 v138, v87 offset:576
	ds_load_u16 v139, v87 offset:832
	;; [unrolled: 1-line block ×3, first 2 shown]
	s_wait_dscnt 0xf
	ds_load_u16_d16_hi v132, v87 offset:128
	s_wait_dscnt 0xf
	ds_load_u16_d16_hi v136, v87 offset:192
	ds_load_u16 v137, v87 offset:320
	s_wait_dscnt 0x10
	ds_load_u16_d16_hi v131, v87 offset:2944
	ds_load_u16 v152, v87 offset:4160
	ds_load_u16 v153, v87 offset:4416
	ds_load_u16 v154, v87 offset:4672
	s_wait_dscnt 0xf
	ds_load_u16_d16_hi v126, v87 offset:2752
	ds_load_u16 v127, v87 offset:2880
	s_wait_dscnt 0x10
	ds_load_u16_d16_hi v148, v87 offset:6272
	ds_load_u16 v149, v87 offset:6400
	ds_load_u16 v150, v87 offset:6656
	;; [unrolled: 1-line block ×3, first 2 shown]
	s_wait_dscnt 0x13
	ds_load_u16_d16_hi v155, v87 offset:5056
	ds_load_u16 v156, v87 offset:6208
	ds_load_u16 v158, v87 offset:6720
	;; [unrolled: 1-line block ×4, first 2 shown]
	ds_load_u16_d16_hi v134, v87 offset:640
	ds_load_u16_d16_hi v135, v87 offset:896
	;; [unrolled: 1-line block ×4, first 2 shown]
	s_wait_dscnt 0x16
	ds_load_u16_d16_hi v124, v87 offset:2240
	ds_load_u16_d16_hi v139, v87 offset:960
	;; [unrolled: 1-line block ×3, first 2 shown]
	s_wait_dscnt 0x16
	ds_load_u16_d16_hi v137, v87 offset:448
	ds_load_u16_d16_hi v144, v87 offset:4224
	s_wait_dscnt 0x14
	ds_load_u16_d16_hi v154, v87 offset:4800
	ds_load_u16_d16_hi v153, v87 offset:4544
	;; [unrolled: 1-line block ×3, first 2 shown]
	s_wait_dscnt 0x15
	ds_load_u16_d16_hi v127, v87 offset:3008
	ds_load_u16_d16_hi v145, v87 offset:4480
	;; [unrolled: 1-line block ×4, first 2 shown]
	s_wait_dscnt 0x17
	ds_load_u16_d16_hi v149, v87 offset:6528
	s_wait_dscnt 0x14
	ds_load_u16_d16_hi v156, v87 offset:6336
	ds_load_u16_d16_hi v150, v87 offset:6784
	;; [unrolled: 1-line block ×3, first 2 shown]
	s_wait_dscnt 0x15
	ds_load_u16_d16_hi v159, v87 offset:7104
	ds_load_u16_d16_hi v158, v87 offset:6848
	s_wait_dscnt 0x16
	ds_load_u16_d16_hi v157, v87 offset:6592
	.loc	1 62 39                         ; persistent_matmul.py:62:39
	s_wait_dscnt 0x15
	v_wmma_f32_16x16x16_bf16 v[0:7], v[132:135], v[33:36], v[0:7]
	v_wmma_f32_16x16x16_bf16 v[16:23], v[132:135], v[37:40], v[16:23]
	s_wait_dscnt 0xf
	v_wmma_f32_16x16x16_bf16 v[8:15], v[136:139], v[33:36], v[8:15]
	v_wmma_f32_16x16x16_bf16 v[24:31], v[136:139], v[37:40], v[24:31]
	;; [unrolled: 1-line block ×4, first 2 shown]
	s_wait_dscnt 0xa
	v_wmma_f32_16x16x16_bf16 v[8:15], v[124:127], v[41:44], v[8:15]
	v_wmma_f32_16x16x16_bf16 v[24:31], v[124:127], v[45:48], v[24:31]
	s_wait_dscnt 0x7
	v_wmma_f32_16x16x16_bf16 v[0:7], v[144:147], v[52:55], v[0:7]
	v_wmma_f32_16x16x16_bf16 v[16:23], v[144:147], v[56:59], v[16:23]
	v_wmma_f32_16x16x16_bf16 v[8:15], v[152:155], v[52:55], v[8:15]
	v_wmma_f32_16x16x16_bf16 v[24:31], v[152:155], v[56:59], v[24:31]
	s_wait_dscnt 0x3
	v_wmma_f32_16x16x16_bf16 v[0:7], v[148:151], v[60:63], v[0:7]
	v_wmma_f32_16x16x16_bf16 v[16:23], v[148:151], v[140:143], v[16:23]
	s_wait_dscnt 0x0
	v_wmma_f32_16x16x16_bf16 v[8:15], v[156:159], v[60:63], v[8:15]
	v_wmma_f32_16x16x16_bf16 v[24:31], v[156:159], v[140:143], v[24:31]
	.loc	1 43 59                         ; persistent_matmul.py:43:59
	s_cbranch_scc1 .LBB0_4
; %bb.89:                               ;   in Loop: Header=BB0_5 Depth=1
	.loc	1 64 21                         ; persistent_matmul.py:64:21
	s_addk_co_i32 s41, 0x130
	s_delay_alu instid0(SALU_CYCLE_1)
.Ltmp29:
	.loc	1 10 26                         ; persistent_matmul.py:10:26 @[ persistent_matmul.py:65:90 ]
	s_abs_i32 s16, s41
	s_wait_alu depctr_sa_sdst(0)
	s_mul_u64 s[0:1], s[16:17], s[34:35]
	s_ashr_i32 s0, s41, 31
	s_wait_alu depctr_sa_sdst(0)
	s_mul_i32 s2, s1, s51
	s_xor_b32 s3, s0, s59
	s_wait_alu depctr_sa_sdst(0)
	s_sub_co_i32 s2, s16, s2
	s_add_co_i32 s4, s1, 1
	s_wait_alu depctr_sa_sdst(0)
	s_sub_co_i32 s5, s2, s51
	s_cmp_ge_u32 s2, s51
	s_cselect_b32 s1, s4, s1
	s_wait_alu depctr_sa_sdst(0)
	s_cselect_b32 s2, s5, s2
	s_add_co_i32 s4, s1, 1
	s_wait_alu depctr_sa_sdst(0)
	s_cmp_ge_u32 s2, s51
	s_cselect_b32 s1, s4, s1
	s_wait_alu depctr_sa_sdst(0)
	s_xor_b32 s1, s1, s3
	s_wait_alu depctr_sa_sdst(0)
	s_sub_co_i32 s1, s1, s3
	.loc	1 11 29                         ; persistent_matmul.py:11:29 @[ persistent_matmul.py:65:90 ]
	s_wait_alu depctr_sa_sdst(0)
	s_lshl_b32 s2, s1, 2
	.loc	1 14 23                         ; persistent_matmul.py:14:23 @[ persistent_matmul.py:65:90 ]
	s_mul_i32 s1, s1, s37
	.loc	1 12 35                         ; persistent_matmul.py:12:35 @[ persistent_matmul.py:65:90 ]
	s_wait_alu depctr_sa_sdst(0)
	s_sub_co_i32 s3, s33, s2
	.loc	1 12 48 is_stmt 0               ; persistent_matmul.py:12:48 @[ persistent_matmul.py:65:90 ]
	s_wait_alu depctr_sa_sdst(0)
	s_min_i32 s3, s3, 4
	.loc	1 13 37 is_stmt 1               ; persistent_matmul.py:13:37 @[ persistent_matmul.py:65:90 ]
	s_wait_alu depctr_sa_sdst(0)
	s_abs_i32 s4, s3
	s_wait_alu depctr_sa_sdst(0)
	s_cvt_f32_u32 s5, s4
	s_sub_co_i32 s6, 0, s4
	s_wait_alu depctr_sa_sdst(0)
	s_delay_alu instid0(SALU_CYCLE_1) | instskip(NEXT) | instid1(TRANS32_DEP_1)
	v_rcp_iflag_f32_e32 v33, s5
	v_readfirstlane_b32 s5, v33
	s_mul_f32 s5, s5, 0x4f7ffffe
	s_wait_alu depctr_sa_sdst(0)
	s_delay_alu instid0(SALU_CYCLE_2) | instskip(SKIP_1) | instid1(SALU_CYCLE_2)
	s_cvt_u32_f32 s5, s5
	s_wait_alu depctr_sa_sdst(0)
	s_mul_i32 s6, s6, s5
	s_wait_alu depctr_sa_sdst(0)
	s_mul_hi_u32 s6, s5, s6
	s_wait_alu depctr_sa_sdst(0)
	s_add_co_i32 s5, s5, s6
	s_wait_alu depctr_sa_sdst(0)
	s_mul_hi_u32 s6, s16, s5
	s_wait_alu depctr_sa_sdst(0)
	s_mul_i32 s6, s6, s4
	s_wait_alu depctr_sa_sdst(0)
	s_sub_co_i32 s6, s16, s6
	s_wait_alu depctr_sa_sdst(0)
	s_sub_co_i32 s7, s6, s4
	s_cmp_ge_u32 s6, s4
	s_wait_alu depctr_sa_sdst(0)
	s_cselect_b32 s6, s7, s6
	s_wait_alu depctr_sa_sdst(0)
	s_sub_co_i32 s7, s6, s4
	s_cmp_ge_u32 s6, s4
	s_wait_alu depctr_sa_sdst(0)
	s_cselect_b32 s6, s7, s6
	.loc	1 14 23                         ; persistent_matmul.py:14:23 @[ persistent_matmul.py:65:90 ]
	s_sub_co_i32 s1, s41, s1
	.loc	1 13 37                         ; persistent_matmul.py:13:37 @[ persistent_matmul.py:65:90 ]
	s_wait_alu depctr_sa_sdst(0)
	s_xor_b32 s6, s6, s0
	.loc	1 14 44                         ; persistent_matmul.py:14:44 @[ persistent_matmul.py:65:90 ]
	s_xor_b32 s3, s1, s3
	s_abs_i32 s1, s1
	.loc	1 13 37                         ; persistent_matmul.py:13:37 @[ persistent_matmul.py:65:90 ]
	s_wait_alu depctr_sa_sdst(0)
	s_sub_co_i32 s0, s6, s0
	.loc	1 14 44                         ; persistent_matmul.py:14:44 @[ persistent_matmul.py:65:90 ]
	s_mul_hi_u32 s5, s1, s5
	.loc	1 13 27                         ; persistent_matmul.py:13:27 @[ persistent_matmul.py:65:90 ]
	s_wait_alu depctr_sa_sdst(0)
	s_add_co_i32 s2, s2, s0
	.loc	1 14 44                         ; persistent_matmul.py:14:44 @[ persistent_matmul.py:65:90 ]
	s_mul_i32 s6, s5, s4
	s_ashr_i32 s3, s3, 31
	s_wait_alu depctr_sa_sdst(0)
	s_sub_co_i32 s0, s1, s6
	s_add_co_i32 s1, s5, 1
	s_wait_alu depctr_sa_sdst(0)
	s_sub_co_i32 s6, s0, s4
	s_cmp_ge_u32 s0, s4
	s_cselect_b32 s1, s1, s5
	s_wait_alu depctr_sa_sdst(0)
	s_cselect_b32 s0, s6, s0
	s_add_co_i32 s5, s1, 1
	s_wait_alu depctr_sa_sdst(0)
	s_cmp_ge_u32 s0, s4
	s_cselect_b32 s0, s5, s1
.Ltmp30:
	.loc	1 66 26                         ; persistent_matmul.py:66:26
	s_lshl_b32 s16, s2, 7
.Ltmp31:
	.loc	1 14 44                         ; persistent_matmul.py:14:44 @[ persistent_matmul.py:65:90 ]
	s_wait_alu depctr_sa_sdst(0)
	s_xor_b32 s0, s0, s3
.Ltmp32:
	.loc	1 66 41                         ; persistent_matmul.py:66:41
	v_or_b32_e32 v36, s16, v77
.Ltmp33:
	.loc	1 14 44                         ; persistent_matmul.py:14:44 @[ persistent_matmul.py:65:90 ]
	s_wait_alu depctr_sa_sdst(0)
	s_sub_co_i32 s0, s0, s3
.Ltmp34:
	.loc	1 67 26                         ; persistent_matmul.py:67:26
	s_wait_alu depctr_sa_sdst(0)
	s_lshl_b32 s64, s0, 6
	.loc	1 68 37                         ; persistent_matmul.py:68:37
	v_mul_lo_u32 v33, v36, s18
	.loc	1 67 41                         ; persistent_matmul.py:67:41
	s_wait_alu depctr_sa_sdst(0)
	v_or_b32_e32 v37, s64, v65
	.loc	1 69 37                         ; persistent_matmul.py:69:37
	v_cmp_gt_i32_e64 s4, s22, v36
	s_delay_alu instid0(VALU_DEP_2) | instskip(NEXT) | instid1(VALU_DEP_4)
	.loc	1 69 62 is_stmt 0               ; persistent_matmul.py:69:62
	v_cmp_gt_i32_e32 vcc_lo, s23, v37
	.loc	1 68 25 is_stmt 1               ; persistent_matmul.py:68:25
	v_ashrrev_i32_e32 v34, 31, v33
	s_delay_alu instid0(VALU_DEP_1) | instskip(SKIP_1) | instid1(VALU_DEP_2)
	v_lshlrev_b64_e32 v[34:35], 1, v[33:34]
	.loc	1 68 68 is_stmt 0               ; persistent_matmul.py:68:68
	v_mul_lo_u32 v33, v37, s19
	.loc	1 68 25                         ; persistent_matmul.py:68:25
	v_add_co_u32 v124, s0, s20, v34
	s_wait_alu depctr_va_sdst(0)
	s_delay_alu instid0(VALU_DEP_3) | instskip(NEXT) | instid1(VALU_DEP_3)
	v_add_co_ci_u32_e64 v125, null, s21, v35, s0
	.loc	1 68 56                         ; persistent_matmul.py:68:56
	v_ashrrev_i32_e32 v34, 31, v33
	.loc	1 69 43 is_stmt 1               ; persistent_matmul.py:69:43
	s_and_b32 s0, s4, vcc_lo
	.loc	1 74 25                         ; persistent_matmul.py:74:25
	s_wait_alu depctr_sa_sdst(0)
	s_and_saveexec_b32 s1, s0
	s_cbranch_execz .LBB0_91
; %bb.90:                               ;   in Loop: Header=BB0_5 Depth=1
	.loc	1 73 31                         ; persistent_matmul.py:73:31
	v_bfe_u32 v35, v0, 16, 1
	v_cmp_o_f32_e64 s0, v0, v0
	s_delay_alu instid0(VALU_DEP_2) | instskip(NEXT) | instid1(VALU_DEP_1)
	v_add3_u32 v35, v0, v35, 0x7fff
	v_lshrrev_b32_e32 v37, 16, v35
	.loc	1 68 56                         ; persistent_matmul.py:68:56
	v_lshlrev_b64_e32 v[35:36], 1, v[33:34]
	.loc	1 73 31                         ; persistent_matmul.py:73:31
	s_wait_alu depctr_va_sdst(0)
	s_delay_alu instid0(VALU_DEP_2) | instskip(NEXT) | instid1(VALU_DEP_2)
	v_cndmask_b32_e64 v37, 0x7fff, v37, s0
	.loc	1 68 56                         ; persistent_matmul.py:68:56
	v_add_co_u32 v35, s0, v124, v35
	s_wait_alu depctr_va_sdst(0)
	s_delay_alu instid0(VALU_DEP_3)
	v_add_co_ci_u32_e64 v36, null, v125, v36, s0
	.loc	1 74 25                         ; persistent_matmul.py:74:25
	global_store_b16 v[35:36], v37, off
.LBB0_91:                               ;   in Loop: Header=BB0_5 Depth=1
	.loc	1 0 25 is_stmt 0                ; persistent_matmul.py:0:25
	s_wait_alu depctr_sa_sdst(0)
	s_or_b32 exec_lo, exec_lo, s1
	.loc	1 67 41 is_stmt 1               ; persistent_matmul.py:67:41
	v_or_b32_e32 v36, s64, v66
	s_delay_alu instid0(VALU_DEP_1)
	.loc	1 68 68                         ; persistent_matmul.py:68:68
	v_mul_lo_u32 v35, v36, s19
	.loc	1 69 62                         ; persistent_matmul.py:69:62
	v_cmp_gt_i32_e64 s0, s23, v36
	.loc	1 69 43 is_stmt 0               ; persistent_matmul.py:69:43
	s_and_b32 s1, s4, s0
	.loc	1 68 56 is_stmt 1               ; persistent_matmul.py:68:56
	v_ashrrev_i32_e32 v36, 31, v35
	.loc	1 74 25                         ; persistent_matmul.py:74:25
	s_wait_alu depctr_sa_sdst(0)
	s_and_saveexec_b32 s2, s1
	s_cbranch_execz .LBB0_93
; %bb.92:                               ;   in Loop: Header=BB0_5 Depth=1
	.loc	1 73 31                         ; persistent_matmul.py:73:31
	v_bfe_u32 v37, v1, 16, 1
	s_delay_alu instid0(VALU_DEP_1) | instskip(SKIP_1) | instid1(VALU_DEP_2)
	v_add3_u32 v39, v1, v37, 0x7fff
	.loc	1 68 56                         ; persistent_matmul.py:68:56
	v_lshlrev_b64_e32 v[37:38], 1, v[35:36]
	.loc	1 73 31                         ; persistent_matmul.py:73:31
	v_lshrrev_b32_e32 v39, 16, v39
	s_delay_alu instid0(VALU_DEP_2) | instskip(SKIP_1) | instid1(VALU_DEP_3)
	.loc	1 68 56                         ; persistent_matmul.py:68:56
	v_add_co_u32 v37, s1, v124, v37
	s_wait_alu depctr_va_sdst(0)
	v_add_co_ci_u32_e64 v38, null, v125, v38, s1
	.loc	1 73 31                         ; persistent_matmul.py:73:31
	v_cmp_o_f32_e64 s1, v1, v1
	s_wait_alu depctr_va_sdst(0)
	s_delay_alu instid0(VALU_DEP_1)
	v_cndmask_b32_e64 v39, 0x7fff, v39, s1
	.loc	1 74 25                         ; persistent_matmul.py:74:25
	global_store_b16 v[37:38], v39, off
.LBB0_93:                               ;   in Loop: Header=BB0_5 Depth=1
	.loc	1 0 25 is_stmt 0                ; persistent_matmul.py:0:25
	s_wait_alu depctr_sa_sdst(0)
	s_or_b32 exec_lo, exec_lo, s2
	.loc	1 67 41 is_stmt 1               ; persistent_matmul.py:67:41
	v_or_b32_e32 v38, s64, v67
	s_delay_alu instid0(VALU_DEP_1)
	.loc	1 68 68                         ; persistent_matmul.py:68:68
	v_mul_lo_u32 v37, v38, s19
	.loc	1 69 62                         ; persistent_matmul.py:69:62
	v_cmp_gt_i32_e64 s1, s23, v38
	.loc	1 69 43 is_stmt 0               ; persistent_matmul.py:69:43
	s_and_b32 s2, s4, s1
	.loc	1 68 56 is_stmt 1               ; persistent_matmul.py:68:56
	v_ashrrev_i32_e32 v38, 31, v37
	.loc	1 74 25                         ; persistent_matmul.py:74:25
	s_wait_alu depctr_sa_sdst(0)
	s_and_saveexec_b32 s3, s2
	s_cbranch_execz .LBB0_95
; %bb.94:                               ;   in Loop: Header=BB0_5 Depth=1
	.loc	1 73 31                         ; persistent_matmul.py:73:31
	v_bfe_u32 v39, v2, 16, 1
	s_delay_alu instid0(VALU_DEP_1) | instskip(SKIP_1) | instid1(VALU_DEP_2)
	v_add3_u32 v41, v2, v39, 0x7fff
	.loc	1 68 56                         ; persistent_matmul.py:68:56
	v_lshlrev_b64_e32 v[39:40], 1, v[37:38]
	.loc	1 73 31                         ; persistent_matmul.py:73:31
	v_lshrrev_b32_e32 v41, 16, v41
	s_delay_alu instid0(VALU_DEP_2) | instskip(SKIP_1) | instid1(VALU_DEP_3)
	.loc	1 68 56                         ; persistent_matmul.py:68:56
	v_add_co_u32 v39, s2, v124, v39
	s_wait_alu depctr_va_sdst(0)
	v_add_co_ci_u32_e64 v40, null, v125, v40, s2
	.loc	1 73 31                         ; persistent_matmul.py:73:31
	v_cmp_o_f32_e64 s2, v2, v2
	s_wait_alu depctr_va_sdst(0)
	s_delay_alu instid0(VALU_DEP_1)
	v_cndmask_b32_e64 v41, 0x7fff, v41, s2
	.loc	1 74 25                         ; persistent_matmul.py:74:25
	global_store_b16 v[39:40], v41, off
.LBB0_95:                               ;   in Loop: Header=BB0_5 Depth=1
	;; [unrolled: 40-line block ×4, first 2 shown]
	.loc	1 0 25 is_stmt 0                ; persistent_matmul.py:0:25
	s_wait_alu depctr_sa_sdst(0)
	s_or_b32 exec_lo, exec_lo, s6
	.loc	1 67 41 is_stmt 1               ; persistent_matmul.py:67:41
	v_or_b32_e32 v44, s64, v70
	s_delay_alu instid0(VALU_DEP_1)
	.loc	1 68 68                         ; persistent_matmul.py:68:68
	v_mul_lo_u32 v43, v44, s19
	.loc	1 69 62                         ; persistent_matmul.py:69:62
	v_cmp_gt_i32_e64 s5, s23, v44
	.loc	1 69 43 is_stmt 0               ; persistent_matmul.py:69:43
	s_and_b32 s6, s4, s5
	.loc	1 68 56 is_stmt 1               ; persistent_matmul.py:68:56
	v_ashrrev_i32_e32 v44, 31, v43
	.loc	1 74 25                         ; persistent_matmul.py:74:25
	s_wait_alu depctr_sa_sdst(0)
	s_and_saveexec_b32 s7, s6
	s_cbranch_execz .LBB0_101
; %bb.100:                              ;   in Loop: Header=BB0_5 Depth=1
	.loc	1 73 31                         ; persistent_matmul.py:73:31
	v_bfe_u32 v45, v5, 16, 1
	s_delay_alu instid0(VALU_DEP_1) | instskip(SKIP_1) | instid1(VALU_DEP_2)
	v_add3_u32 v47, v5, v45, 0x7fff
	.loc	1 68 56                         ; persistent_matmul.py:68:56
	v_lshlrev_b64_e32 v[45:46], 1, v[43:44]
	.loc	1 73 31                         ; persistent_matmul.py:73:31
	v_lshrrev_b32_e32 v47, 16, v47
	s_delay_alu instid0(VALU_DEP_2) | instskip(SKIP_1) | instid1(VALU_DEP_3)
	.loc	1 68 56                         ; persistent_matmul.py:68:56
	v_add_co_u32 v45, s6, v124, v45
	s_wait_alu depctr_va_sdst(0)
	v_add_co_ci_u32_e64 v46, null, v125, v46, s6
	.loc	1 73 31                         ; persistent_matmul.py:73:31
	v_cmp_o_f32_e64 s6, v5, v5
	s_wait_alu depctr_va_sdst(0)
	s_delay_alu instid0(VALU_DEP_1)
	v_cndmask_b32_e64 v47, 0x7fff, v47, s6
	.loc	1 74 25                         ; persistent_matmul.py:74:25
	global_store_b16 v[45:46], v47, off
.LBB0_101:                              ;   in Loop: Header=BB0_5 Depth=1
	.loc	1 0 25 is_stmt 0                ; persistent_matmul.py:0:25
	s_wait_alu depctr_sa_sdst(0)
	s_or_b32 exec_lo, exec_lo, s7
	.loc	1 67 41 is_stmt 1               ; persistent_matmul.py:67:41
	v_or_b32_e32 v46, s64, v71
	s_delay_alu instid0(VALU_DEP_1)
	.loc	1 68 68                         ; persistent_matmul.py:68:68
	v_mul_lo_u32 v45, v46, s19
	.loc	1 69 62                         ; persistent_matmul.py:69:62
	v_cmp_gt_i32_e64 s6, s23, v46
	.loc	1 69 43 is_stmt 0               ; persistent_matmul.py:69:43
	s_and_b32 s7, s4, s6
	.loc	1 68 56 is_stmt 1               ; persistent_matmul.py:68:56
	v_ashrrev_i32_e32 v46, 31, v45
	.loc	1 74 25                         ; persistent_matmul.py:74:25
	s_wait_alu depctr_sa_sdst(0)
	s_and_saveexec_b32 s8, s7
	s_cbranch_execz .LBB0_103
; %bb.102:                              ;   in Loop: Header=BB0_5 Depth=1
	.loc	1 73 31                         ; persistent_matmul.py:73:31
	v_bfe_u32 v47, v6, 16, 1
	s_delay_alu instid0(VALU_DEP_1) | instskip(SKIP_1) | instid1(VALU_DEP_2)
	v_add3_u32 v49, v6, v47, 0x7fff
	.loc	1 68 56                         ; persistent_matmul.py:68:56
	v_lshlrev_b64_e32 v[47:48], 1, v[45:46]
	.loc	1 73 31                         ; persistent_matmul.py:73:31
	v_lshrrev_b32_e32 v49, 16, v49
	s_delay_alu instid0(VALU_DEP_2) | instskip(SKIP_1) | instid1(VALU_DEP_3)
	.loc	1 68 56                         ; persistent_matmul.py:68:56
	v_add_co_u32 v47, s7, v124, v47
	s_wait_alu depctr_va_sdst(0)
	v_add_co_ci_u32_e64 v48, null, v125, v48, s7
	.loc	1 73 31                         ; persistent_matmul.py:73:31
	v_cmp_o_f32_e64 s7, v6, v6
	s_wait_alu depctr_va_sdst(0)
	s_delay_alu instid0(VALU_DEP_1)
	v_cndmask_b32_e64 v49, 0x7fff, v49, s7
	.loc	1 74 25                         ; persistent_matmul.py:74:25
	global_store_b16 v[47:48], v49, off
.LBB0_103:                              ;   in Loop: Header=BB0_5 Depth=1
	;; [unrolled: 40-line block ×11, first 2 shown]
	.loc	1 0 25 is_stmt 0                ; persistent_matmul.py:0:25
	s_wait_alu depctr_sa_sdst(0)
	s_or_b32 exec_lo, exec_lo, s64
	.loc	1 66 41 is_stmt 1               ; persistent_matmul.py:66:41
	v_or_b32_e32 v126, s16, v82
	s_delay_alu instid0(VALU_DEP_1) | instskip(SKIP_3) | instid1(VALU_DEP_1)
	.loc	1 68 37                         ; persistent_matmul.py:68:37
	v_mul_lo_u32 v124, v126, s18
	.loc	1 69 37                         ; persistent_matmul.py:69:37
	v_cmp_gt_i32_e64 s4, s22, v126
	.loc	1 69 43 is_stmt 0               ; persistent_matmul.py:69:43
	s_and_b32 s64, s4, vcc_lo
	.loc	1 68 25 is_stmt 1               ; persistent_matmul.py:68:25
	v_ashrrev_i32_e32 v125, 31, v124
	v_lshlrev_b64_e32 v[124:125], 1, v[124:125]
	s_delay_alu instid0(VALU_DEP_1) | instskip(SKIP_1) | instid1(VALU_DEP_2)
	v_add_co_u32 v124, s16, s20, v124
	s_wait_alu depctr_va_sdst(0)
	v_add_co_ci_u32_e64 v125, null, s21, v125, s16
	.loc	1 74 25                         ; persistent_matmul.py:74:25
	s_wait_alu depctr_sa_sdst(0)
	s_and_saveexec_b32 s16, s64
	s_cbranch_execnz .LBB0_152
; %bb.122:                              ;   in Loop: Header=BB0_5 Depth=1
	.loc	1 0 25 is_stmt 0                ; persistent_matmul.py:0:25
	s_wait_alu depctr_sa_sdst(0)
	s_or_b32 exec_lo, exec_lo, s16
	.loc	1 69 43 is_stmt 1               ; persistent_matmul.py:69:43
	s_and_b32 s16, s4, s0
	.loc	1 74 25                         ; persistent_matmul.py:74:25
	s_wait_alu depctr_sa_sdst(0)
	s_and_saveexec_b32 s0, s16
	s_cbranch_execnz .LBB0_153
.LBB0_123:                              ;   in Loop: Header=BB0_5 Depth=1
	.loc	1 0 25 is_stmt 0                ; persistent_matmul.py:0:25
	s_wait_alu depctr_sa_sdst(0)
	s_or_b32 exec_lo, exec_lo, s0
	.loc	1 69 43 is_stmt 1               ; persistent_matmul.py:69:43
	s_and_b32 s1, s4, s1
	.loc	1 74 25                         ; persistent_matmul.py:74:25
	s_wait_alu depctr_sa_sdst(0)
	s_and_saveexec_b32 s0, s1
	s_cbranch_execnz .LBB0_154
.LBB0_124:                              ;   in Loop: Header=BB0_5 Depth=1
	.loc	1 0 25 is_stmt 0                ; persistent_matmul.py:0:25
	s_wait_alu depctr_sa_sdst(0)
	s_or_b32 exec_lo, exec_lo, s0
	.loc	1 69 43 is_stmt 1               ; persistent_matmul.py:69:43
	s_and_b32 s1, s4, s2
	.loc	1 74 25                         ; persistent_matmul.py:74:25
	s_wait_alu depctr_sa_sdst(0)
	s_and_saveexec_b32 s0, s1
	s_cbranch_execnz .LBB0_155
.LBB0_125:                              ;   in Loop: Header=BB0_5 Depth=1
	.loc	1 0 25 is_stmt 0                ; persistent_matmul.py:0:25
	s_wait_alu depctr_sa_sdst(0)
	s_or_b32 exec_lo, exec_lo, s0
	.loc	1 69 43 is_stmt 1               ; persistent_matmul.py:69:43
	s_and_b32 s1, s4, s3
	.loc	1 74 25                         ; persistent_matmul.py:74:25
	s_wait_alu depctr_sa_sdst(0)
	s_and_saveexec_b32 s0, s1
	s_cbranch_execnz .LBB0_156
.LBB0_126:                              ;   in Loop: Header=BB0_5 Depth=1
	.loc	1 0 25 is_stmt 0                ; persistent_matmul.py:0:25
	s_wait_alu depctr_sa_sdst(0)
	s_or_b32 exec_lo, exec_lo, s0
	.loc	1 69 43 is_stmt 1               ; persistent_matmul.py:69:43
	s_and_b32 s1, s4, s5
	.loc	1 74 25                         ; persistent_matmul.py:74:25
	s_wait_alu depctr_sa_sdst(0)
	s_and_saveexec_b32 s0, s1
	s_cbranch_execnz .LBB0_157
.LBB0_127:                              ;   in Loop: Header=BB0_5 Depth=1
	.loc	1 0 25 is_stmt 0                ; persistent_matmul.py:0:25
	s_wait_alu depctr_sa_sdst(0)
	s_or_b32 exec_lo, exec_lo, s0
	.loc	1 69 43 is_stmt 1               ; persistent_matmul.py:69:43
	s_and_b32 s1, s4, s6
	.loc	1 74 25                         ; persistent_matmul.py:74:25
	s_wait_alu depctr_sa_sdst(0)
	s_and_saveexec_b32 s0, s1
	s_cbranch_execnz .LBB0_158
.LBB0_128:                              ;   in Loop: Header=BB0_5 Depth=1
	.loc	1 0 25 is_stmt 0                ; persistent_matmul.py:0:25
	s_wait_alu depctr_sa_sdst(0)
	s_or_b32 exec_lo, exec_lo, s0
	.loc	1 69 43 is_stmt 1               ; persistent_matmul.py:69:43
	s_and_b32 s1, s4, s7
	.loc	1 74 25                         ; persistent_matmul.py:74:25
	s_wait_alu depctr_sa_sdst(0)
	s_and_saveexec_b32 s0, s1
	s_cbranch_execnz .LBB0_159
.LBB0_129:                              ;   in Loop: Header=BB0_5 Depth=1
	.loc	1 0 25 is_stmt 0                ; persistent_matmul.py:0:25
	s_wait_alu depctr_sa_sdst(0)
	s_or_b32 exec_lo, exec_lo, s0
	.loc	1 69 43 is_stmt 1               ; persistent_matmul.py:69:43
	s_and_b32 s1, s4, s8
	.loc	1 74 25                         ; persistent_matmul.py:74:25
	s_wait_alu depctr_sa_sdst(0)
	s_and_saveexec_b32 s0, s1
	s_cbranch_execnz .LBB0_160
.LBB0_130:                              ;   in Loop: Header=BB0_5 Depth=1
	.loc	1 0 25 is_stmt 0                ; persistent_matmul.py:0:25
	s_wait_alu depctr_sa_sdst(0)
	s_or_b32 exec_lo, exec_lo, s0
	.loc	1 69 43 is_stmt 1               ; persistent_matmul.py:69:43
	s_and_b32 s1, s4, s9
	.loc	1 74 25                         ; persistent_matmul.py:74:25
	s_wait_alu depctr_sa_sdst(0)
	s_and_saveexec_b32 s0, s1
	s_cbranch_execnz .LBB0_161
.LBB0_131:                              ;   in Loop: Header=BB0_5 Depth=1
	.loc	1 0 25 is_stmt 0                ; persistent_matmul.py:0:25
	s_wait_alu depctr_sa_sdst(0)
	s_or_b32 exec_lo, exec_lo, s0
	.loc	1 69 43 is_stmt 1               ; persistent_matmul.py:69:43
	s_and_b32 s1, s4, s10
	.loc	1 74 25                         ; persistent_matmul.py:74:25
	s_wait_alu depctr_sa_sdst(0)
	s_and_saveexec_b32 s0, s1
	s_cbranch_execnz .LBB0_162
.LBB0_132:                              ;   in Loop: Header=BB0_5 Depth=1
	.loc	1 0 25 is_stmt 0                ; persistent_matmul.py:0:25
	s_wait_alu depctr_sa_sdst(0)
	s_or_b32 exec_lo, exec_lo, s0
	.loc	1 69 43 is_stmt 1               ; persistent_matmul.py:69:43
	s_and_b32 s1, s4, s11
	.loc	1 74 25                         ; persistent_matmul.py:74:25
	s_wait_alu depctr_sa_sdst(0)
	s_and_saveexec_b32 s0, s1
	s_cbranch_execnz .LBB0_163
.LBB0_133:                              ;   in Loop: Header=BB0_5 Depth=1
	.loc	1 0 25 is_stmt 0                ; persistent_matmul.py:0:25
	s_wait_alu depctr_sa_sdst(0)
	s_or_b32 exec_lo, exec_lo, s0
	.loc	1 69 43 is_stmt 1               ; persistent_matmul.py:69:43
	s_and_b32 s1, s4, s12
	.loc	1 74 25                         ; persistent_matmul.py:74:25
	s_wait_alu depctr_sa_sdst(0)
	s_and_saveexec_b32 s0, s1
	s_cbranch_execnz .LBB0_164
.LBB0_134:                              ;   in Loop: Header=BB0_5 Depth=1
	.loc	1 0 25 is_stmt 0                ; persistent_matmul.py:0:25
	s_wait_alu depctr_sa_sdst(0)
	s_or_b32 exec_lo, exec_lo, s0
	.loc	1 69 43 is_stmt 1               ; persistent_matmul.py:69:43
	s_and_b32 s1, s4, s13
	.loc	1 74 25                         ; persistent_matmul.py:74:25
	s_wait_alu depctr_sa_sdst(0)
	s_and_saveexec_b32 s0, s1
	s_cbranch_execnz .LBB0_165
.LBB0_135:                              ;   in Loop: Header=BB0_5 Depth=1
	.loc	1 0 25 is_stmt 0                ; persistent_matmul.py:0:25
	s_wait_alu depctr_sa_sdst(0)
	s_or_b32 exec_lo, exec_lo, s0
	.loc	1 69 43 is_stmt 1               ; persistent_matmul.py:69:43
	s_and_b32 s1, s4, s14
	.loc	1 74 25                         ; persistent_matmul.py:74:25
	s_wait_alu depctr_sa_sdst(0)
	s_and_saveexec_b32 s0, s1
	s_cbranch_execnz .LBB0_166
.LBB0_136:                              ;   in Loop: Header=BB0_5 Depth=1
	.loc	1 0 25 is_stmt 0                ; persistent_matmul.py:0:25
	s_wait_alu depctr_sa_sdst(0)
	s_or_b32 exec_lo, exec_lo, s0
	.loc	1 69 43 is_stmt 1               ; persistent_matmul.py:69:43
	s_and_b32 s1, s4, s15
	.loc	1 74 25                         ; persistent_matmul.py:74:25
	s_wait_alu depctr_sa_sdst(0)
	s_and_saveexec_b32 s0, s1
	s_cbranch_execz .LBB0_3
	s_branch .LBB0_167
.LBB0_137:                              ;   in Loop: Header=BB0_5 Depth=1
	.loc	1 56 41                         ; persistent_matmul.py:56:41
	s_or_b32 s0, s1, s42
	.loc	1 58 60                         ; persistent_matmul.py:58:60
	s_wait_loadcnt 0x0
	s_wait_alu depctr_sa_sdst(0)
	v_mad_co_u64_u32 v[125:126], null, s0, s30, v[32:33]
	s_delay_alu instid0(VALU_DEP_1) | instskip(NEXT) | instid1(VALU_DEP_1)
	.loc	1 58 30 is_stmt 0               ; persistent_matmul.py:58:30
	v_ashrrev_i32_e32 v126, 31, v125
	v_lshlrev_b64_e32 v[125:126], 1, v[125:126]
	s_delay_alu instid0(VALU_DEP_1) | instskip(SKIP_1) | instid1(VALU_DEP_2)
	v_add_co_u32 v125, vcc_lo, s26, v125
	s_wait_alu depctr_va_vcc(0)
	v_add_co_ci_u32_e64 v126, null, s27, v126, vcc_lo
	.loc	1 61 24 is_stmt 1               ; persistent_matmul.py:61:24
	global_load_u16 v125, v[125:126], off
	.loc	1 61 64 is_stmt 0               ; persistent_matmul.py:61:64
	s_cmp_ge_i32 s43, s2
	.loc	1 61 24                         ; persistent_matmul.py:61:24
	s_cbranch_scc1 .LBB0_73
.LBB0_138:                              ;   in Loop: Header=BB0_5 Depth=1
	.loc	1 56 41 is_stmt 1               ; persistent_matmul.py:56:41
	s_or_b32 s0, s1, s43
	.loc	1 58 60                         ; persistent_matmul.py:58:60
	s_wait_loadcnt 0x0
	s_wait_alu depctr_sa_sdst(0)
	v_mad_co_u64_u32 v[126:127], null, s0, s30, v[32:33]
	s_delay_alu instid0(VALU_DEP_1) | instskip(NEXT) | instid1(VALU_DEP_1)
	.loc	1 58 30 is_stmt 0               ; persistent_matmul.py:58:30
	v_ashrrev_i32_e32 v127, 31, v126
	v_lshlrev_b64_e32 v[126:127], 1, v[126:127]
	s_delay_alu instid0(VALU_DEP_1) | instskip(SKIP_1) | instid1(VALU_DEP_2)
	v_add_co_u32 v126, vcc_lo, s26, v126
	s_wait_alu depctr_va_vcc(0)
	v_add_co_ci_u32_e64 v127, null, s27, v127, vcc_lo
	.loc	1 61 24 is_stmt 1               ; persistent_matmul.py:61:24
	global_load_u16 v51, v[126:127], off
	v_dual_mov_b32 v126, 0 :: v_dual_mov_b32 v127, 0
	.loc	1 61 64 is_stmt 0               ; persistent_matmul.py:61:64
	s_cmp_ge_i32 s44, s2
	.loc	1 61 24                         ; persistent_matmul.py:61:24
	s_cbranch_scc1 .LBB0_74
.LBB0_139:                              ;   in Loop: Header=BB0_5 Depth=1
	.loc	1 56 41 is_stmt 1               ; persistent_matmul.py:56:41
	s_or_b32 s0, s1, s44
	.loc	1 58 60                         ; persistent_matmul.py:58:60
	s_wait_loadcnt 0x0
	s_wait_alu depctr_sa_sdst(0)
	v_mad_co_u64_u32 v[127:128], null, s0, s30, v[32:33]
	s_delay_alu instid0(VALU_DEP_1) | instskip(NEXT) | instid1(VALU_DEP_1)
	.loc	1 58 30 is_stmt 0               ; persistent_matmul.py:58:30
	v_ashrrev_i32_e32 v128, 31, v127
	v_lshlrev_b64_e32 v[127:128], 1, v[127:128]
	s_delay_alu instid0(VALU_DEP_1) | instskip(SKIP_1) | instid1(VALU_DEP_2)
	v_add_co_u32 v127, vcc_lo, s26, v127
	s_wait_alu depctr_va_vcc(0)
	v_add_co_ci_u32_e64 v128, null, s27, v128, vcc_lo
	.loc	1 61 24 is_stmt 1               ; persistent_matmul.py:61:24
	global_load_u16 v127, v[127:128], off
	.loc	1 61 64 is_stmt 0               ; persistent_matmul.py:61:64
	s_cmp_ge_i32 s45, s2
	.loc	1 61 24                         ; persistent_matmul.py:61:24
	s_cbranch_scc1 .LBB0_75
.LBB0_140:                              ;   in Loop: Header=BB0_5 Depth=1
	.loc	1 56 41 is_stmt 1               ; persistent_matmul.py:56:41
	s_or_b32 s0, s1, s45
	.loc	1 58 60                         ; persistent_matmul.py:58:60
	s_wait_loadcnt 0x0
	s_wait_alu depctr_sa_sdst(0)
	v_mad_co_u64_u32 v[128:129], null, s0, s30, v[32:33]
	s_delay_alu instid0(VALU_DEP_1) | instskip(NEXT) | instid1(VALU_DEP_1)
	.loc	1 58 30 is_stmt 0               ; persistent_matmul.py:58:30
	v_ashrrev_i32_e32 v129, 31, v128
	v_lshlrev_b64_e32 v[128:129], 1, v[128:129]
	s_delay_alu instid0(VALU_DEP_1) | instskip(SKIP_1) | instid1(VALU_DEP_2)
	v_add_co_u32 v128, vcc_lo, s26, v128
	s_wait_alu depctr_va_vcc(0)
	v_add_co_ci_u32_e64 v129, null, s27, v129, vcc_lo
	.loc	1 61 24 is_stmt 1               ; persistent_matmul.py:61:24
	global_load_u16 v126, v[128:129], off
	v_dual_mov_b32 v128, 0 :: v_dual_mov_b32 v129, 0
	.loc	1 61 64 is_stmt 0               ; persistent_matmul.py:61:64
	s_cmp_ge_i32 s46, s2
	.loc	1 61 24                         ; persistent_matmul.py:61:24
	s_cbranch_scc1 .LBB0_76
.LBB0_141:                              ;   in Loop: Header=BB0_5 Depth=1
	.loc	1 56 41 is_stmt 1               ; persistent_matmul.py:56:41
	s_or_b32 s0, s1, s46
	.loc	1 58 60                         ; persistent_matmul.py:58:60
	s_wait_loadcnt 0x0
	s_wait_alu depctr_sa_sdst(0)
	v_mad_co_u64_u32 v[129:130], null, s0, s30, v[32:33]
	s_delay_alu instid0(VALU_DEP_1) | instskip(NEXT) | instid1(VALU_DEP_1)
	.loc	1 58 30 is_stmt 0               ; persistent_matmul.py:58:30
	v_ashrrev_i32_e32 v130, 31, v129
	v_lshlrev_b64_e32 v[129:130], 1, v[129:130]
	s_delay_alu instid0(VALU_DEP_1) | instskip(SKIP_1) | instid1(VALU_DEP_2)
	v_add_co_u32 v129, vcc_lo, s26, v129
	s_wait_alu depctr_va_vcc(0)
	v_add_co_ci_u32_e64 v130, null, s27, v130, vcc_lo
	.loc	1 61 24 is_stmt 1               ; persistent_matmul.py:61:24
	global_load_u16 v129, v[129:130], off
	.loc	1 61 64 is_stmt 0               ; persistent_matmul.py:61:64
	s_cmp_ge_i32 s47, s2
	.loc	1 61 24                         ; persistent_matmul.py:61:24
	s_cbranch_scc1 .LBB0_77
.LBB0_142:                              ;   in Loop: Header=BB0_5 Depth=1
	.loc	1 56 41 is_stmt 1               ; persistent_matmul.py:56:41
	s_or_b32 s0, s1, s47
	.loc	1 58 60                         ; persistent_matmul.py:58:60
	s_wait_loadcnt 0x0
	s_wait_alu depctr_sa_sdst(0)
	v_mad_co_u64_u32 v[130:131], null, s0, s30, v[32:33]
	s_delay_alu instid0(VALU_DEP_1) | instskip(NEXT) | instid1(VALU_DEP_1)
	.loc	1 58 30 is_stmt 0               ; persistent_matmul.py:58:30
	v_ashrrev_i32_e32 v131, 31, v130
	v_lshlrev_b64_e32 v[130:131], 1, v[130:131]
	s_delay_alu instid0(VALU_DEP_1) | instskip(SKIP_1) | instid1(VALU_DEP_2)
	v_add_co_u32 v130, vcc_lo, s26, v130
	s_wait_alu depctr_va_vcc(0)
	v_add_co_ci_u32_e64 v131, null, s27, v131, vcc_lo
	.loc	1 61 24 is_stmt 1               ; persistent_matmul.py:61:24
	global_load_u16 v128, v[130:131], off
	v_dual_mov_b32 v130, 0 :: v_dual_mov_b32 v131, 0
	.loc	1 61 64 is_stmt 0               ; persistent_matmul.py:61:64
	s_cmp_ge_i32 s48, s2
	.loc	1 61 24                         ; persistent_matmul.py:61:24
	s_cbranch_scc1 .LBB0_78
.LBB0_143:                              ;   in Loop: Header=BB0_5 Depth=1
	.loc	1 56 41 is_stmt 1               ; persistent_matmul.py:56:41
	s_or_b32 s0, s1, s48
	.loc	1 58 60                         ; persistent_matmul.py:58:60
	s_wait_loadcnt 0x0
	s_wait_alu depctr_sa_sdst(0)
	v_mad_co_u64_u32 v[131:132], null, s0, s30, v[32:33]
	s_delay_alu instid0(VALU_DEP_1) | instskip(NEXT) | instid1(VALU_DEP_1)
	.loc	1 58 30 is_stmt 0               ; persistent_matmul.py:58:30
	v_ashrrev_i32_e32 v132, 31, v131
	v_lshlrev_b64_e32 v[131:132], 1, v[131:132]
	s_delay_alu instid0(VALU_DEP_1) | instskip(SKIP_1) | instid1(VALU_DEP_2)
	v_add_co_u32 v131, vcc_lo, s26, v131
	s_wait_alu depctr_va_vcc(0)
	v_add_co_ci_u32_e64 v132, null, s27, v132, vcc_lo
	.loc	1 61 24 is_stmt 1               ; persistent_matmul.py:61:24
	global_load_u16 v131, v[131:132], off
	.loc	1 61 64 is_stmt 0               ; persistent_matmul.py:61:64
	s_cmp_ge_i32 s49, s2
	.loc	1 61 24                         ; persistent_matmul.py:61:24
	s_cbranch_scc1 .LBB0_79
.LBB0_144:                              ;   in Loop: Header=BB0_5 Depth=1
	.loc	1 56 41 is_stmt 1               ; persistent_matmul.py:56:41
	s_or_b32 s0, s1, s49
	.loc	1 58 60                         ; persistent_matmul.py:58:60
	s_wait_loadcnt 0x0
	s_wait_alu depctr_sa_sdst(0)
	v_mad_co_u64_u32 v[132:133], null, s0, s30, v[32:33]
	s_delay_alu instid0(VALU_DEP_1) | instskip(NEXT) | instid1(VALU_DEP_1)
	.loc	1 58 30 is_stmt 0               ; persistent_matmul.py:58:30
	v_ashrrev_i32_e32 v133, 31, v132
	v_lshlrev_b64_e32 v[132:133], 1, v[132:133]
	s_delay_alu instid0(VALU_DEP_1) | instskip(SKIP_1) | instid1(VALU_DEP_2)
	v_add_co_u32 v132, vcc_lo, s26, v132
	s_wait_alu depctr_va_vcc(0)
	v_add_co_ci_u32_e64 v133, null, s27, v133, vcc_lo
	.loc	1 61 24 is_stmt 1               ; persistent_matmul.py:61:24
	global_load_u16 v130, v[132:133], off
	v_dual_mov_b32 v132, 0 :: v_dual_mov_b32 v133, 0
	.loc	1 61 64 is_stmt 0               ; persistent_matmul.py:61:64
	s_cmp_ge_i32 s50, s2
	.loc	1 61 24                         ; persistent_matmul.py:61:24
	s_cbranch_scc1 .LBB0_80
.LBB0_145:                              ;   in Loop: Header=BB0_5 Depth=1
	.loc	1 56 41 is_stmt 1               ; persistent_matmul.py:56:41
	s_or_b32 s0, s1, s50
	.loc	1 58 60                         ; persistent_matmul.py:58:60
	s_wait_loadcnt 0x0
	s_wait_alu depctr_sa_sdst(0)
	v_mad_co_u64_u32 v[133:134], null, s0, s30, v[32:33]
	s_delay_alu instid0(VALU_DEP_1) | instskip(NEXT) | instid1(VALU_DEP_1)
	.loc	1 58 30 is_stmt 0               ; persistent_matmul.py:58:30
	v_ashrrev_i32_e32 v134, 31, v133
	v_lshlrev_b64_e32 v[133:134], 1, v[133:134]
	s_delay_alu instid0(VALU_DEP_1) | instskip(SKIP_1) | instid1(VALU_DEP_2)
	v_add_co_u32 v133, vcc_lo, s26, v133
	s_wait_alu depctr_va_vcc(0)
	v_add_co_ci_u32_e64 v134, null, s27, v134, vcc_lo
	.loc	1 61 24 is_stmt 1               ; persistent_matmul.py:61:24
	global_load_u16 v133, v[133:134], off
	.loc	1 61 64 is_stmt 0               ; persistent_matmul.py:61:64
	s_cmp_ge_i32 s52, s2
	.loc	1 61 24                         ; persistent_matmul.py:61:24
	s_cbranch_scc1 .LBB0_81
.LBB0_146:                              ;   in Loop: Header=BB0_5 Depth=1
	.loc	1 56 41 is_stmt 1               ; persistent_matmul.py:56:41
	s_or_b32 s0, s1, s52
	.loc	1 58 60                         ; persistent_matmul.py:58:60
	s_wait_loadcnt 0x0
	s_wait_alu depctr_sa_sdst(0)
	v_mad_co_u64_u32 v[134:135], null, s0, s30, v[32:33]
	s_delay_alu instid0(VALU_DEP_1) | instskip(NEXT) | instid1(VALU_DEP_1)
	.loc	1 58 30 is_stmt 0               ; persistent_matmul.py:58:30
	v_ashrrev_i32_e32 v135, 31, v134
	v_lshlrev_b64_e32 v[134:135], 1, v[134:135]
	s_delay_alu instid0(VALU_DEP_1) | instskip(SKIP_1) | instid1(VALU_DEP_2)
	v_add_co_u32 v134, vcc_lo, s26, v134
	s_wait_alu depctr_va_vcc(0)
	v_add_co_ci_u32_e64 v135, null, s27, v135, vcc_lo
	.loc	1 61 24 is_stmt 1               ; persistent_matmul.py:61:24
	global_load_u16 v132, v[134:135], off
	v_dual_mov_b32 v134, 0 :: v_dual_mov_b32 v135, 0
	.loc	1 61 64 is_stmt 0               ; persistent_matmul.py:61:64
	s_cmp_ge_i32 s53, s2
	.loc	1 61 24                         ; persistent_matmul.py:61:24
	s_cbranch_scc1 .LBB0_82
.LBB0_147:                              ;   in Loop: Header=BB0_5 Depth=1
	.loc	1 56 41 is_stmt 1               ; persistent_matmul.py:56:41
	s_or_b32 s0, s1, s53
	.loc	1 58 60                         ; persistent_matmul.py:58:60
	s_wait_loadcnt 0x0
	s_wait_alu depctr_sa_sdst(0)
	v_mad_co_u64_u32 v[135:136], null, s0, s30, v[32:33]
	s_delay_alu instid0(VALU_DEP_1) | instskip(NEXT) | instid1(VALU_DEP_1)
	.loc	1 58 30 is_stmt 0               ; persistent_matmul.py:58:30
	v_ashrrev_i32_e32 v136, 31, v135
	v_lshlrev_b64_e32 v[135:136], 1, v[135:136]
	s_delay_alu instid0(VALU_DEP_1) | instskip(SKIP_1) | instid1(VALU_DEP_2)
	v_add_co_u32 v135, vcc_lo, s26, v135
	s_wait_alu depctr_va_vcc(0)
	v_add_co_ci_u32_e64 v136, null, s27, v136, vcc_lo
	.loc	1 61 24 is_stmt 1               ; persistent_matmul.py:61:24
	global_load_u16 v135, v[135:136], off
	.loc	1 61 64 is_stmt 0               ; persistent_matmul.py:61:64
	s_cmp_ge_i32 s54, s2
	.loc	1 61 24                         ; persistent_matmul.py:61:24
	s_cbranch_scc1 .LBB0_83
.LBB0_148:                              ;   in Loop: Header=BB0_5 Depth=1
	.loc	1 56 41 is_stmt 1               ; persistent_matmul.py:56:41
	s_or_b32 s0, s1, s54
	.loc	1 58 60                         ; persistent_matmul.py:58:60
	s_wait_loadcnt 0x0
	s_wait_alu depctr_sa_sdst(0)
	v_mad_co_u64_u32 v[136:137], null, s0, s30, v[32:33]
	s_delay_alu instid0(VALU_DEP_1) | instskip(NEXT) | instid1(VALU_DEP_1)
	.loc	1 58 30 is_stmt 0               ; persistent_matmul.py:58:30
	v_ashrrev_i32_e32 v137, 31, v136
	v_lshlrev_b64_e32 v[136:137], 1, v[136:137]
	s_delay_alu instid0(VALU_DEP_1) | instskip(SKIP_1) | instid1(VALU_DEP_2)
	v_add_co_u32 v136, vcc_lo, s26, v136
	s_wait_alu depctr_va_vcc(0)
	v_add_co_ci_u32_e64 v137, null, s27, v137, vcc_lo
	.loc	1 61 24 is_stmt 1               ; persistent_matmul.py:61:24
	global_load_u16 v134, v[136:137], off
	v_dual_mov_b32 v136, 0 :: v_dual_mov_b32 v137, 0
	.loc	1 61 64 is_stmt 0               ; persistent_matmul.py:61:64
	s_cmp_ge_i32 s55, s2
	.loc	1 61 24                         ; persistent_matmul.py:61:24
	s_cbranch_scc1 .LBB0_84
.LBB0_149:                              ;   in Loop: Header=BB0_5 Depth=1
	.loc	1 56 41 is_stmt 1               ; persistent_matmul.py:56:41
	s_or_b32 s0, s1, s55
	.loc	1 58 60                         ; persistent_matmul.py:58:60
	s_wait_loadcnt 0x0
	s_wait_alu depctr_sa_sdst(0)
	v_mad_co_u64_u32 v[137:138], null, s0, s30, v[32:33]
	s_delay_alu instid0(VALU_DEP_1) | instskip(NEXT) | instid1(VALU_DEP_1)
	.loc	1 58 30 is_stmt 0               ; persistent_matmul.py:58:30
	v_ashrrev_i32_e32 v138, 31, v137
	v_lshlrev_b64_e32 v[137:138], 1, v[137:138]
	s_delay_alu instid0(VALU_DEP_1) | instskip(SKIP_1) | instid1(VALU_DEP_2)
	v_add_co_u32 v137, vcc_lo, s26, v137
	s_wait_alu depctr_va_vcc(0)
	v_add_co_ci_u32_e64 v138, null, s27, v138, vcc_lo
	.loc	1 61 24 is_stmt 1               ; persistent_matmul.py:61:24
	global_load_u16 v137, v[137:138], off
	.loc	1 61 64 is_stmt 0               ; persistent_matmul.py:61:64
	s_cmp_ge_i32 s56, s2
	.loc	1 61 24                         ; persistent_matmul.py:61:24
	s_cbranch_scc1 .LBB0_85
.LBB0_150:                              ;   in Loop: Header=BB0_5 Depth=1
	.loc	1 56 41 is_stmt 1               ; persistent_matmul.py:56:41
	s_or_b32 s0, s1, s56
	.loc	1 58 60                         ; persistent_matmul.py:58:60
	s_wait_loadcnt 0x0
	s_wait_alu depctr_sa_sdst(0)
	v_mad_co_u64_u32 v[138:139], null, s0, s30, v[32:33]
	s_delay_alu instid0(VALU_DEP_1) | instskip(NEXT) | instid1(VALU_DEP_1)
	.loc	1 58 30 is_stmt 0               ; persistent_matmul.py:58:30
	v_ashrrev_i32_e32 v139, 31, v138
	v_lshlrev_b64_e32 v[138:139], 1, v[138:139]
	s_delay_alu instid0(VALU_DEP_1) | instskip(SKIP_1) | instid1(VALU_DEP_2)
	v_add_co_u32 v138, vcc_lo, s26, v138
	s_wait_alu depctr_va_vcc(0)
	v_add_co_ci_u32_e64 v139, null, s27, v139, vcc_lo
	.loc	1 61 24 is_stmt 1               ; persistent_matmul.py:61:24
	global_load_u16 v136, v[138:139], off
	v_dual_mov_b32 v138, 0 :: v_dual_mov_b32 v139, 0
	.loc	1 61 64 is_stmt 0               ; persistent_matmul.py:61:64
	s_cmp_ge_i32 s57, s2
	.loc	1 61 24                         ; persistent_matmul.py:61:24
	s_cbranch_scc1 .LBB0_86
.LBB0_151:                              ;   in Loop: Header=BB0_5 Depth=1
	.loc	1 56 41 is_stmt 1               ; persistent_matmul.py:56:41
	s_or_b32 s0, s1, s57
	.loc	1 58 60                         ; persistent_matmul.py:58:60
	s_wait_loadcnt 0x0
	s_wait_alu depctr_sa_sdst(0)
	v_mad_co_u64_u32 v[139:140], null, s0, s30, v[32:33]
	s_delay_alu instid0(VALU_DEP_1) | instskip(NEXT) | instid1(VALU_DEP_1)
	.loc	1 58 30 is_stmt 0               ; persistent_matmul.py:58:30
	v_ashrrev_i32_e32 v140, 31, v139
	v_lshlrev_b64_e32 v[139:140], 1, v[139:140]
	s_delay_alu instid0(VALU_DEP_1) | instskip(SKIP_1) | instid1(VALU_DEP_2)
	v_add_co_u32 v139, vcc_lo, s26, v139
	s_wait_alu depctr_va_vcc(0)
	v_add_co_ci_u32_e64 v140, null, s27, v140, vcc_lo
	.loc	1 61 24 is_stmt 1               ; persistent_matmul.py:61:24
	global_load_u16 v139, v[139:140], off
	.loc	1 61 64 is_stmt 0               ; persistent_matmul.py:61:64
	s_cmp_ge_i32 s58, s2
	.loc	1 61 24                         ; persistent_matmul.py:61:24
	s_cbranch_scc0 .LBB0_87
	s_branch .LBB0_88
.LBB0_152:                              ;   in Loop: Header=BB0_5 Depth=1
	.loc	1 73 31 is_stmt 1               ; persistent_matmul.py:73:31
	v_bfe_u32 v126, v16, 16, 1
	.loc	1 68 56                         ; persistent_matmul.py:68:56
	v_lshlrev_b64_e32 v[33:34], 1, v[33:34]
	s_delay_alu instid0(VALU_DEP_2) | instskip(NEXT) | instid1(VALU_DEP_2)
	.loc	1 73 31                         ; persistent_matmul.py:73:31
	v_add3_u32 v126, v16, v126, 0x7fff
	.loc	1 68 56                         ; persistent_matmul.py:68:56
	v_add_co_u32 v33, vcc_lo, v124, v33
	s_wait_alu depctr_va_vcc(0)
	s_delay_alu instid0(VALU_DEP_3) | instskip(NEXT) | instid1(VALU_DEP_3)
	v_add_co_ci_u32_e64 v34, null, v125, v34, vcc_lo
	.loc	1 73 31                         ; persistent_matmul.py:73:31
	v_lshrrev_b32_e32 v126, 16, v126
	v_cmp_o_f32_e32 vcc_lo, v16, v16
	s_wait_alu depctr_va_vcc(0)
	s_delay_alu instid0(VALU_DEP_2)
	v_cndmask_b32_e32 v126, 0x7fff, v126, vcc_lo
	.loc	1 74 25                         ; persistent_matmul.py:74:25
	global_store_b16 v[33:34], v126, off
	s_wait_alu depctr_sa_sdst(0)
	s_or_b32 exec_lo, exec_lo, s16
	.loc	1 69 43                         ; persistent_matmul.py:69:43
	s_and_b32 s16, s4, s0
	.loc	1 74 25                         ; persistent_matmul.py:74:25
	s_wait_alu depctr_sa_sdst(0)
	s_and_saveexec_b32 s0, s16
	s_cbranch_execz .LBB0_123
.LBB0_153:                              ;   in Loop: Header=BB0_5 Depth=1
	.loc	1 73 31                         ; persistent_matmul.py:73:31
	v_bfe_u32 v33, v17, 16, 1
	s_delay_alu instid0(VALU_DEP_1) | instskip(SKIP_1) | instid1(VALU_DEP_2)
	v_add3_u32 v126, v17, v33, 0x7fff
	.loc	1 68 56                         ; persistent_matmul.py:68:56
	v_lshlrev_b64_e32 v[33:34], 1, v[35:36]
	.loc	1 73 31                         ; persistent_matmul.py:73:31
	v_lshrrev_b32_e32 v35, 16, v126
	s_delay_alu instid0(VALU_DEP_2) | instskip(SKIP_1) | instid1(VALU_DEP_3)
	.loc	1 68 56                         ; persistent_matmul.py:68:56
	v_add_co_u32 v33, vcc_lo, v124, v33
	s_wait_alu depctr_va_vcc(0)
	v_add_co_ci_u32_e64 v34, null, v125, v34, vcc_lo
	.loc	1 73 31                         ; persistent_matmul.py:73:31
	v_cmp_o_f32_e32 vcc_lo, v17, v17
	s_wait_alu depctr_va_vcc(0)
	v_cndmask_b32_e32 v35, 0x7fff, v35, vcc_lo
	.loc	1 74 25                         ; persistent_matmul.py:74:25
	global_store_b16 v[33:34], v35, off
	s_wait_alu depctr_sa_sdst(0)
	s_or_b32 exec_lo, exec_lo, s0
	.loc	1 69 43                         ; persistent_matmul.py:69:43
	s_and_b32 s1, s4, s1
	.loc	1 74 25                         ; persistent_matmul.py:74:25
	s_wait_alu depctr_sa_sdst(0)
	s_and_saveexec_b32 s0, s1
	s_cbranch_execz .LBB0_124
.LBB0_154:                              ;   in Loop: Header=BB0_5 Depth=1
	.loc	1 73 31                         ; persistent_matmul.py:73:31
	v_bfe_u32 v33, v18, 16, 1
	s_delay_alu instid0(VALU_DEP_1) | instskip(SKIP_1) | instid1(VALU_DEP_2)
	v_add3_u32 v35, v18, v33, 0x7fff
	.loc	1 68 56                         ; persistent_matmul.py:68:56
	v_lshlrev_b64_e32 v[33:34], 1, v[37:38]
	.loc	1 73 31                         ; persistent_matmul.py:73:31
	v_lshrrev_b32_e32 v35, 16, v35
	s_delay_alu instid0(VALU_DEP_2) | instskip(SKIP_1) | instid1(VALU_DEP_3)
	.loc	1 68 56                         ; persistent_matmul.py:68:56
	v_add_co_u32 v33, vcc_lo, v124, v33
	s_wait_alu depctr_va_vcc(0)
	v_add_co_ci_u32_e64 v34, null, v125, v34, vcc_lo
	.loc	1 73 31                         ; persistent_matmul.py:73:31
	v_cmp_o_f32_e32 vcc_lo, v18, v18
	s_wait_alu depctr_va_vcc(0)
	v_cndmask_b32_e32 v35, 0x7fff, v35, vcc_lo
	.loc	1 74 25                         ; persistent_matmul.py:74:25
	global_store_b16 v[33:34], v35, off
	s_wait_alu depctr_sa_sdst(0)
	s_or_b32 exec_lo, exec_lo, s0
	.loc	1 69 43                         ; persistent_matmul.py:69:43
	s_and_b32 s1, s4, s2
	.loc	1 74 25                         ; persistent_matmul.py:74:25
	s_wait_alu depctr_sa_sdst(0)
	s_and_saveexec_b32 s0, s1
	s_cbranch_execz .LBB0_125
.LBB0_155:                              ;   in Loop: Header=BB0_5 Depth=1
	.loc	1 73 31                         ; persistent_matmul.py:73:31
	v_bfe_u32 v33, v19, 16, 1
	s_delay_alu instid0(VALU_DEP_1) | instskip(SKIP_1) | instid1(VALU_DEP_2)
	v_add3_u32 v35, v19, v33, 0x7fff
	.loc	1 68 56                         ; persistent_matmul.py:68:56
	v_lshlrev_b64_e32 v[33:34], 1, v[39:40]
	.loc	1 73 31                         ; persistent_matmul.py:73:31
	v_lshrrev_b32_e32 v35, 16, v35
	s_delay_alu instid0(VALU_DEP_2) | instskip(SKIP_1) | instid1(VALU_DEP_3)
	.loc	1 68 56                         ; persistent_matmul.py:68:56
	v_add_co_u32 v33, vcc_lo, v124, v33
	s_wait_alu depctr_va_vcc(0)
	v_add_co_ci_u32_e64 v34, null, v125, v34, vcc_lo
	.loc	1 73 31                         ; persistent_matmul.py:73:31
	v_cmp_o_f32_e32 vcc_lo, v19, v19
	s_wait_alu depctr_va_vcc(0)
	v_cndmask_b32_e32 v35, 0x7fff, v35, vcc_lo
	.loc	1 74 25                         ; persistent_matmul.py:74:25
	global_store_b16 v[33:34], v35, off
	s_wait_alu depctr_sa_sdst(0)
	s_or_b32 exec_lo, exec_lo, s0
	.loc	1 69 43                         ; persistent_matmul.py:69:43
	s_and_b32 s1, s4, s3
	.loc	1 74 25                         ; persistent_matmul.py:74:25
	s_wait_alu depctr_sa_sdst(0)
	s_and_saveexec_b32 s0, s1
	s_cbranch_execz .LBB0_126
.LBB0_156:                              ;   in Loop: Header=BB0_5 Depth=1
	.loc	1 73 31                         ; persistent_matmul.py:73:31
	v_bfe_u32 v33, v20, 16, 1
	s_delay_alu instid0(VALU_DEP_1) | instskip(SKIP_1) | instid1(VALU_DEP_2)
	v_add3_u32 v35, v20, v33, 0x7fff
	.loc	1 68 56                         ; persistent_matmul.py:68:56
	v_lshlrev_b64_e32 v[33:34], 1, v[41:42]
	.loc	1 73 31                         ; persistent_matmul.py:73:31
	v_lshrrev_b32_e32 v35, 16, v35
	s_delay_alu instid0(VALU_DEP_2) | instskip(SKIP_1) | instid1(VALU_DEP_3)
	.loc	1 68 56                         ; persistent_matmul.py:68:56
	v_add_co_u32 v33, vcc_lo, v124, v33
	s_wait_alu depctr_va_vcc(0)
	v_add_co_ci_u32_e64 v34, null, v125, v34, vcc_lo
	.loc	1 73 31                         ; persistent_matmul.py:73:31
	v_cmp_o_f32_e32 vcc_lo, v20, v20
	s_wait_alu depctr_va_vcc(0)
	v_cndmask_b32_e32 v35, 0x7fff, v35, vcc_lo
	.loc	1 74 25                         ; persistent_matmul.py:74:25
	global_store_b16 v[33:34], v35, off
	s_wait_alu depctr_sa_sdst(0)
	s_or_b32 exec_lo, exec_lo, s0
	.loc	1 69 43                         ; persistent_matmul.py:69:43
	s_and_b32 s1, s4, s5
	.loc	1 74 25                         ; persistent_matmul.py:74:25
	s_wait_alu depctr_sa_sdst(0)
	s_and_saveexec_b32 s0, s1
	s_cbranch_execz .LBB0_127
.LBB0_157:                              ;   in Loop: Header=BB0_5 Depth=1
	.loc	1 73 31                         ; persistent_matmul.py:73:31
	v_bfe_u32 v33, v21, 16, 1
	s_delay_alu instid0(VALU_DEP_1) | instskip(SKIP_1) | instid1(VALU_DEP_2)
	v_add3_u32 v35, v21, v33, 0x7fff
	.loc	1 68 56                         ; persistent_matmul.py:68:56
	v_lshlrev_b64_e32 v[33:34], 1, v[43:44]
	.loc	1 73 31                         ; persistent_matmul.py:73:31
	v_lshrrev_b32_e32 v35, 16, v35
	s_delay_alu instid0(VALU_DEP_2) | instskip(SKIP_1) | instid1(VALU_DEP_3)
	.loc	1 68 56                         ; persistent_matmul.py:68:56
	v_add_co_u32 v33, vcc_lo, v124, v33
	s_wait_alu depctr_va_vcc(0)
	v_add_co_ci_u32_e64 v34, null, v125, v34, vcc_lo
	.loc	1 73 31                         ; persistent_matmul.py:73:31
	v_cmp_o_f32_e32 vcc_lo, v21, v21
	s_wait_alu depctr_va_vcc(0)
	v_cndmask_b32_e32 v35, 0x7fff, v35, vcc_lo
	.loc	1 74 25                         ; persistent_matmul.py:74:25
	global_store_b16 v[33:34], v35, off
	s_wait_alu depctr_sa_sdst(0)
	s_or_b32 exec_lo, exec_lo, s0
	.loc	1 69 43                         ; persistent_matmul.py:69:43
	s_and_b32 s1, s4, s6
	.loc	1 74 25                         ; persistent_matmul.py:74:25
	s_wait_alu depctr_sa_sdst(0)
	s_and_saveexec_b32 s0, s1
	s_cbranch_execz .LBB0_128
.LBB0_158:                              ;   in Loop: Header=BB0_5 Depth=1
	.loc	1 73 31                         ; persistent_matmul.py:73:31
	v_bfe_u32 v33, v22, 16, 1
	s_delay_alu instid0(VALU_DEP_1) | instskip(SKIP_1) | instid1(VALU_DEP_2)
	v_add3_u32 v35, v22, v33, 0x7fff
	.loc	1 68 56                         ; persistent_matmul.py:68:56
	v_lshlrev_b64_e32 v[33:34], 1, v[45:46]
	.loc	1 73 31                         ; persistent_matmul.py:73:31
	v_lshrrev_b32_e32 v35, 16, v35
	s_delay_alu instid0(VALU_DEP_2) | instskip(SKIP_1) | instid1(VALU_DEP_3)
	.loc	1 68 56                         ; persistent_matmul.py:68:56
	v_add_co_u32 v33, vcc_lo, v124, v33
	s_wait_alu depctr_va_vcc(0)
	v_add_co_ci_u32_e64 v34, null, v125, v34, vcc_lo
	.loc	1 73 31                         ; persistent_matmul.py:73:31
	v_cmp_o_f32_e32 vcc_lo, v22, v22
	s_wait_alu depctr_va_vcc(0)
	v_cndmask_b32_e32 v35, 0x7fff, v35, vcc_lo
	.loc	1 74 25                         ; persistent_matmul.py:74:25
	global_store_b16 v[33:34], v35, off
	s_wait_alu depctr_sa_sdst(0)
	s_or_b32 exec_lo, exec_lo, s0
	.loc	1 69 43                         ; persistent_matmul.py:69:43
	s_and_b32 s1, s4, s7
	.loc	1 74 25                         ; persistent_matmul.py:74:25
	s_wait_alu depctr_sa_sdst(0)
	s_and_saveexec_b32 s0, s1
	s_cbranch_execz .LBB0_129
.LBB0_159:                              ;   in Loop: Header=BB0_5 Depth=1
	.loc	1 73 31                         ; persistent_matmul.py:73:31
	v_bfe_u32 v33, v23, 16, 1
	s_delay_alu instid0(VALU_DEP_1) | instskip(SKIP_1) | instid1(VALU_DEP_2)
	v_add3_u32 v35, v23, v33, 0x7fff
	.loc	1 68 56                         ; persistent_matmul.py:68:56
	v_lshlrev_b64_e32 v[33:34], 1, v[47:48]
	.loc	1 73 31                         ; persistent_matmul.py:73:31
	v_lshrrev_b32_e32 v35, 16, v35
	s_delay_alu instid0(VALU_DEP_2) | instskip(SKIP_1) | instid1(VALU_DEP_3)
	.loc	1 68 56                         ; persistent_matmul.py:68:56
	v_add_co_u32 v33, vcc_lo, v124, v33
	s_wait_alu depctr_va_vcc(0)
	v_add_co_ci_u32_e64 v34, null, v125, v34, vcc_lo
	.loc	1 73 31                         ; persistent_matmul.py:73:31
	v_cmp_o_f32_e32 vcc_lo, v23, v23
	s_wait_alu depctr_va_vcc(0)
	v_cndmask_b32_e32 v35, 0x7fff, v35, vcc_lo
	.loc	1 74 25                         ; persistent_matmul.py:74:25
	global_store_b16 v[33:34], v35, off
	s_wait_alu depctr_sa_sdst(0)
	s_or_b32 exec_lo, exec_lo, s0
	.loc	1 69 43                         ; persistent_matmul.py:69:43
	s_and_b32 s1, s4, s8
	.loc	1 74 25                         ; persistent_matmul.py:74:25
	s_wait_alu depctr_sa_sdst(0)
	s_and_saveexec_b32 s0, s1
	s_cbranch_execz .LBB0_130
.LBB0_160:                              ;   in Loop: Header=BB0_5 Depth=1
	.loc	1 73 31                         ; persistent_matmul.py:73:31
	v_bfe_u32 v33, v24, 16, 1
	s_delay_alu instid0(VALU_DEP_1) | instskip(SKIP_1) | instid1(VALU_DEP_2)
	v_add3_u32 v35, v24, v33, 0x7fff
	.loc	1 68 56                         ; persistent_matmul.py:68:56
	v_lshlrev_b64_e32 v[33:34], 1, v[49:50]
	.loc	1 73 31                         ; persistent_matmul.py:73:31
	v_lshrrev_b32_e32 v35, 16, v35
	s_delay_alu instid0(VALU_DEP_2) | instskip(SKIP_1) | instid1(VALU_DEP_3)
	.loc	1 68 56                         ; persistent_matmul.py:68:56
	v_add_co_u32 v33, vcc_lo, v124, v33
	s_wait_alu depctr_va_vcc(0)
	v_add_co_ci_u32_e64 v34, null, v125, v34, vcc_lo
	.loc	1 73 31                         ; persistent_matmul.py:73:31
	v_cmp_o_f32_e32 vcc_lo, v24, v24
	s_wait_alu depctr_va_vcc(0)
	v_cndmask_b32_e32 v35, 0x7fff, v35, vcc_lo
	.loc	1 74 25                         ; persistent_matmul.py:74:25
	global_store_b16 v[33:34], v35, off
	s_wait_alu depctr_sa_sdst(0)
	s_or_b32 exec_lo, exec_lo, s0
	.loc	1 69 43                         ; persistent_matmul.py:69:43
	s_and_b32 s1, s4, s9
	.loc	1 74 25                         ; persistent_matmul.py:74:25
	s_wait_alu depctr_sa_sdst(0)
	s_and_saveexec_b32 s0, s1
	s_cbranch_execz .LBB0_131
.LBB0_161:                              ;   in Loop: Header=BB0_5 Depth=1
	.loc	1 73 31                         ; persistent_matmul.py:73:31
	v_bfe_u32 v33, v25, 16, 1
	s_delay_alu instid0(VALU_DEP_1) | instskip(SKIP_1) | instid1(VALU_DEP_2)
	v_add3_u32 v35, v25, v33, 0x7fff
	.loc	1 68 56                         ; persistent_matmul.py:68:56
	v_lshlrev_b64_e32 v[33:34], 1, v[51:52]
	.loc	1 73 31                         ; persistent_matmul.py:73:31
	v_lshrrev_b32_e32 v35, 16, v35
	s_delay_alu instid0(VALU_DEP_2) | instskip(SKIP_1) | instid1(VALU_DEP_3)
	.loc	1 68 56                         ; persistent_matmul.py:68:56
	v_add_co_u32 v33, vcc_lo, v124, v33
	s_wait_alu depctr_va_vcc(0)
	v_add_co_ci_u32_e64 v34, null, v125, v34, vcc_lo
	.loc	1 73 31                         ; persistent_matmul.py:73:31
	v_cmp_o_f32_e32 vcc_lo, v25, v25
	s_wait_alu depctr_va_vcc(0)
	v_cndmask_b32_e32 v35, 0x7fff, v35, vcc_lo
	.loc	1 74 25                         ; persistent_matmul.py:74:25
	global_store_b16 v[33:34], v35, off
	s_wait_alu depctr_sa_sdst(0)
	s_or_b32 exec_lo, exec_lo, s0
	.loc	1 69 43                         ; persistent_matmul.py:69:43
	s_and_b32 s1, s4, s10
	.loc	1 74 25                         ; persistent_matmul.py:74:25
	s_wait_alu depctr_sa_sdst(0)
	s_and_saveexec_b32 s0, s1
	s_cbranch_execz .LBB0_132
.LBB0_162:                              ;   in Loop: Header=BB0_5 Depth=1
	.loc	1 73 31                         ; persistent_matmul.py:73:31
	v_bfe_u32 v33, v26, 16, 1
	s_delay_alu instid0(VALU_DEP_1) | instskip(SKIP_1) | instid1(VALU_DEP_2)
	v_add3_u32 v35, v26, v33, 0x7fff
	.loc	1 68 56                         ; persistent_matmul.py:68:56
	v_lshlrev_b64_e32 v[33:34], 1, v[53:54]
	.loc	1 73 31                         ; persistent_matmul.py:73:31
	v_lshrrev_b32_e32 v35, 16, v35
	s_delay_alu instid0(VALU_DEP_2) | instskip(SKIP_1) | instid1(VALU_DEP_3)
	.loc	1 68 56                         ; persistent_matmul.py:68:56
	v_add_co_u32 v33, vcc_lo, v124, v33
	s_wait_alu depctr_va_vcc(0)
	v_add_co_ci_u32_e64 v34, null, v125, v34, vcc_lo
	.loc	1 73 31                         ; persistent_matmul.py:73:31
	v_cmp_o_f32_e32 vcc_lo, v26, v26
	s_wait_alu depctr_va_vcc(0)
	v_cndmask_b32_e32 v35, 0x7fff, v35, vcc_lo
	.loc	1 74 25                         ; persistent_matmul.py:74:25
	global_store_b16 v[33:34], v35, off
	s_wait_alu depctr_sa_sdst(0)
	s_or_b32 exec_lo, exec_lo, s0
	.loc	1 69 43                         ; persistent_matmul.py:69:43
	s_and_b32 s1, s4, s11
	.loc	1 74 25                         ; persistent_matmul.py:74:25
	s_wait_alu depctr_sa_sdst(0)
	s_and_saveexec_b32 s0, s1
	s_cbranch_execz .LBB0_133
.LBB0_163:                              ;   in Loop: Header=BB0_5 Depth=1
	.loc	1 73 31                         ; persistent_matmul.py:73:31
	v_bfe_u32 v33, v27, 16, 1
	s_delay_alu instid0(VALU_DEP_1) | instskip(SKIP_1) | instid1(VALU_DEP_2)
	v_add3_u32 v35, v27, v33, 0x7fff
	.loc	1 68 56                         ; persistent_matmul.py:68:56
	v_lshlrev_b64_e32 v[33:34], 1, v[55:56]
	.loc	1 73 31                         ; persistent_matmul.py:73:31
	v_lshrrev_b32_e32 v35, 16, v35
	s_delay_alu instid0(VALU_DEP_2) | instskip(SKIP_1) | instid1(VALU_DEP_3)
	.loc	1 68 56                         ; persistent_matmul.py:68:56
	v_add_co_u32 v33, vcc_lo, v124, v33
	s_wait_alu depctr_va_vcc(0)
	v_add_co_ci_u32_e64 v34, null, v125, v34, vcc_lo
	.loc	1 73 31                         ; persistent_matmul.py:73:31
	v_cmp_o_f32_e32 vcc_lo, v27, v27
	s_wait_alu depctr_va_vcc(0)
	v_cndmask_b32_e32 v35, 0x7fff, v35, vcc_lo
	.loc	1 74 25                         ; persistent_matmul.py:74:25
	global_store_b16 v[33:34], v35, off
	s_wait_alu depctr_sa_sdst(0)
	s_or_b32 exec_lo, exec_lo, s0
	.loc	1 69 43                         ; persistent_matmul.py:69:43
	s_and_b32 s1, s4, s12
	.loc	1 74 25                         ; persistent_matmul.py:74:25
	s_wait_alu depctr_sa_sdst(0)
	s_and_saveexec_b32 s0, s1
	s_cbranch_execz .LBB0_134
.LBB0_164:                              ;   in Loop: Header=BB0_5 Depth=1
	.loc	1 73 31                         ; persistent_matmul.py:73:31
	v_bfe_u32 v33, v28, 16, 1
	s_delay_alu instid0(VALU_DEP_1) | instskip(SKIP_1) | instid1(VALU_DEP_2)
	v_add3_u32 v35, v28, v33, 0x7fff
	.loc	1 68 56                         ; persistent_matmul.py:68:56
	v_lshlrev_b64_e32 v[33:34], 1, v[57:58]
	.loc	1 73 31                         ; persistent_matmul.py:73:31
	v_lshrrev_b32_e32 v35, 16, v35
	s_delay_alu instid0(VALU_DEP_2) | instskip(SKIP_1) | instid1(VALU_DEP_3)
	.loc	1 68 56                         ; persistent_matmul.py:68:56
	v_add_co_u32 v33, vcc_lo, v124, v33
	s_wait_alu depctr_va_vcc(0)
	v_add_co_ci_u32_e64 v34, null, v125, v34, vcc_lo
	.loc	1 73 31                         ; persistent_matmul.py:73:31
	v_cmp_o_f32_e32 vcc_lo, v28, v28
	s_wait_alu depctr_va_vcc(0)
	v_cndmask_b32_e32 v35, 0x7fff, v35, vcc_lo
	.loc	1 74 25                         ; persistent_matmul.py:74:25
	global_store_b16 v[33:34], v35, off
	s_wait_alu depctr_sa_sdst(0)
	s_or_b32 exec_lo, exec_lo, s0
	.loc	1 69 43                         ; persistent_matmul.py:69:43
	s_and_b32 s1, s4, s13
	.loc	1 74 25                         ; persistent_matmul.py:74:25
	s_wait_alu depctr_sa_sdst(0)
	s_and_saveexec_b32 s0, s1
	s_cbranch_execz .LBB0_135
.LBB0_165:                              ;   in Loop: Header=BB0_5 Depth=1
	.loc	1 73 31                         ; persistent_matmul.py:73:31
	v_bfe_u32 v33, v29, 16, 1
	s_delay_alu instid0(VALU_DEP_1) | instskip(SKIP_1) | instid1(VALU_DEP_2)
	v_add3_u32 v35, v29, v33, 0x7fff
	.loc	1 68 56                         ; persistent_matmul.py:68:56
	v_lshlrev_b64_e32 v[33:34], 1, v[59:60]
	.loc	1 73 31                         ; persistent_matmul.py:73:31
	v_lshrrev_b32_e32 v35, 16, v35
	s_delay_alu instid0(VALU_DEP_2) | instskip(SKIP_1) | instid1(VALU_DEP_3)
	.loc	1 68 56                         ; persistent_matmul.py:68:56
	v_add_co_u32 v33, vcc_lo, v124, v33
	s_wait_alu depctr_va_vcc(0)
	v_add_co_ci_u32_e64 v34, null, v125, v34, vcc_lo
	.loc	1 73 31                         ; persistent_matmul.py:73:31
	v_cmp_o_f32_e32 vcc_lo, v29, v29
	s_wait_alu depctr_va_vcc(0)
	v_cndmask_b32_e32 v35, 0x7fff, v35, vcc_lo
	.loc	1 74 25                         ; persistent_matmul.py:74:25
	global_store_b16 v[33:34], v35, off
	s_wait_alu depctr_sa_sdst(0)
	s_or_b32 exec_lo, exec_lo, s0
	.loc	1 69 43                         ; persistent_matmul.py:69:43
	s_and_b32 s1, s4, s14
	.loc	1 74 25                         ; persistent_matmul.py:74:25
	s_wait_alu depctr_sa_sdst(0)
	s_and_saveexec_b32 s0, s1
	s_cbranch_execz .LBB0_136
.LBB0_166:                              ;   in Loop: Header=BB0_5 Depth=1
	.loc	1 73 31                         ; persistent_matmul.py:73:31
	v_bfe_u32 v33, v30, 16, 1
	s_delay_alu instid0(VALU_DEP_1) | instskip(SKIP_1) | instid1(VALU_DEP_2)
	v_add3_u32 v35, v30, v33, 0x7fff
	.loc	1 68 56                         ; persistent_matmul.py:68:56
	v_lshlrev_b64_e32 v[33:34], 1, v[61:62]
	.loc	1 73 31                         ; persistent_matmul.py:73:31
	v_lshrrev_b32_e32 v35, 16, v35
	s_delay_alu instid0(VALU_DEP_2) | instskip(SKIP_1) | instid1(VALU_DEP_3)
	.loc	1 68 56                         ; persistent_matmul.py:68:56
	v_add_co_u32 v33, vcc_lo, v124, v33
	s_wait_alu depctr_va_vcc(0)
	v_add_co_ci_u32_e64 v34, null, v125, v34, vcc_lo
	.loc	1 73 31                         ; persistent_matmul.py:73:31
	v_cmp_o_f32_e32 vcc_lo, v30, v30
	s_wait_alu depctr_va_vcc(0)
	v_cndmask_b32_e32 v35, 0x7fff, v35, vcc_lo
	.loc	1 74 25                         ; persistent_matmul.py:74:25
	global_store_b16 v[33:34], v35, off
	s_wait_alu depctr_sa_sdst(0)
	s_or_b32 exec_lo, exec_lo, s0
	.loc	1 69 43                         ; persistent_matmul.py:69:43
	s_and_b32 s1, s4, s15
	.loc	1 74 25                         ; persistent_matmul.py:74:25
	s_wait_alu depctr_sa_sdst(0)
	s_and_saveexec_b32 s0, s1
	s_cbranch_execz .LBB0_3
.LBB0_167:                              ;   in Loop: Header=BB0_5 Depth=1
	.loc	1 73 31                         ; persistent_matmul.py:73:31
	v_bfe_u32 v33, v31, 16, 1
	s_delay_alu instid0(VALU_DEP_1) | instskip(SKIP_1) | instid1(VALU_DEP_2)
	v_add3_u32 v35, v31, v33, 0x7fff
	.loc	1 68 56                         ; persistent_matmul.py:68:56
	v_lshlrev_b64_e32 v[33:34], 1, v[63:64]
	.loc	1 73 31                         ; persistent_matmul.py:73:31
	v_lshrrev_b32_e32 v35, 16, v35
	s_delay_alu instid0(VALU_DEP_2) | instskip(SKIP_1) | instid1(VALU_DEP_3)
	.loc	1 68 56                         ; persistent_matmul.py:68:56
	v_add_co_u32 v33, vcc_lo, v124, v33
	s_wait_alu depctr_va_vcc(0)
	v_add_co_ci_u32_e64 v34, null, v125, v34, vcc_lo
	.loc	1 73 31                         ; persistent_matmul.py:73:31
	v_cmp_o_f32_e32 vcc_lo, v31, v31
	s_wait_alu depctr_va_vcc(0)
	v_cndmask_b32_e32 v35, 0x7fff, v35, vcc_lo
	.loc	1 74 25                         ; persistent_matmul.py:74:25
	global_store_b16 v[33:34], v35, off
	s_branch .LBB0_3
.LBB0_168:                              ; %Flow172
	.loc	1 0 25 is_stmt 0                ; persistent_matmul.py:0:25
	s_mov_b32 s5, 0
.LBB0_169:                              ; %Flow175
	s_wait_alu depctr_sa_sdst(0)
	s_and_not1_b32 vcc_lo, exec_lo, s5
	s_wait_alu depctr_sa_sdst(0)
	s_cbranch_vccnz .LBB0_237
; %bb.170:                              ; %.preheader
	.loc	1 43 59 is_stmt 1               ; persistent_matmul.py:43:59
	s_cmp_le_i32 s36, ttmp9
	s_cbranch_scc1 .LBB0_237
; %bb.171:                              ; %.lr.ph4.preheader
	.loc	1 0 59 is_stmt 0                ; persistent_matmul.py:0:59
	s_abs_i32 s27, s37
	v_mov_b32_e32 v32, 0
	s_wait_alu depctr_sa_sdst(0)
	s_cvt_f32_u32 s0, s27
	s_sub_co_i32 s1, 0, s27
	s_mov_b32 s17, 0
	s_wait_alu depctr_sa_sdst(0)
	s_mov_b32 s26, ttmp9
	v_rcp_iflag_f32_e32 v0, s0
	s_ashr_i32 s28, s37, 31
	s_mov_b32 s25, s17
.Ltmp35:
	.loc	1 14 44 is_stmt 1               ; persistent_matmul.py:14:44 @[ persistent_matmul.py:65:90 ]
	s_sub_co_i32 s29, 0, s37
	s_delay_alu instid0(TRANS32_DEP_1) | instskip(SKIP_2) | instid1(SALU_CYCLE_2)
	v_readfirstlane_b32 s0, v0
	s_mul_f32 s0, s0, 0x4f7ffffe
	s_wait_alu depctr_sa_sdst(0)
	s_cvt_u32_f32 s0, s0
	s_wait_alu depctr_sa_sdst(0)
	s_delay_alu instid0(SALU_CYCLE_2)
	s_mul_i32 s1, s1, s0
	s_wait_alu depctr_sa_sdst(0)
	s_mul_hi_u32 s1, s0, s1
	s_wait_alu depctr_sa_sdst(0)
	s_add_co_i32 s24, s0, s1
	s_branch .LBB0_173
.Ltmp36:
.LBB0_172:                              ;   in Loop: Header=BB0_173 Depth=1
	.loc	1 0 44 is_stmt 0                ; persistent_matmul.py:0:44
	s_wait_alu depctr_sa_sdst(0)
	s_or_b32 exec_lo, exec_lo, s0
	.loc	1 43 59 is_stmt 1               ; persistent_matmul.py:43:59
	s_addk_co_i32 s26, 0x130
	s_wait_alu depctr_sa_sdst(0)
	s_cmp_ge_i32 s26, s36
	s_cbranch_scc1 .LBB0_237
.LBB0_173:                              ; %.lr.ph4
                                        ; =>This Inner Loop Header: Depth=1
.Ltmp37:
	.loc	1 10 26                         ; persistent_matmul.py:10:26 @[ persistent_matmul.py:65:90 ]
	s_abs_i32 s16, s26
	s_wait_alu depctr_sa_sdst(0)
	s_mul_u64 s[0:1], s[16:17], s[24:25]
	s_ashr_i32 s0, s26, 31
	s_wait_alu depctr_sa_sdst(0)
	s_mul_i32 s2, s1, s27
	s_xor_b32 s3, s0, s28
	s_wait_alu depctr_sa_sdst(0)
	s_sub_co_i32 s2, s16, s2
	s_add_co_i32 s4, s1, 1
	s_wait_alu depctr_sa_sdst(0)
	s_sub_co_i32 s5, s2, s27
	s_cmp_ge_u32 s2, s27
	s_cselect_b32 s1, s4, s1
	s_wait_alu depctr_sa_sdst(0)
	s_cselect_b32 s2, s5, s2
	s_add_co_i32 s4, s1, 1
	s_wait_alu depctr_sa_sdst(0)
	s_cmp_ge_u32 s2, s27
	s_cselect_b32 s1, s4, s1
	s_wait_alu depctr_sa_sdst(0)
	s_xor_b32 s1, s1, s3
	s_wait_alu depctr_sa_sdst(0)
	s_sub_co_i32 s1, s1, s3
	.loc	1 11 29                         ; persistent_matmul.py:11:29 @[ persistent_matmul.py:65:90 ]
	s_wait_alu depctr_sa_sdst(0)
	s_lshl_b32 s2, s1, 2
	.loc	1 14 44                         ; persistent_matmul.py:14:44 @[ persistent_matmul.py:65:90 ]
	s_mul_i32 s8, s29, s1
	.loc	1 12 35                         ; persistent_matmul.py:12:35 @[ persistent_matmul.py:65:90 ]
	s_wait_alu depctr_sa_sdst(0)
	s_sub_co_i32 s3, s33, s2
	.loc	1 14 23                         ; persistent_matmul.py:14:23 @[ persistent_matmul.py:65:90 ]
	s_mul_i32 s1, s1, s37
	.loc	1 12 48                         ; persistent_matmul.py:12:48 @[ persistent_matmul.py:65:90 ]
	s_wait_alu depctr_sa_sdst(0)
	s_min_i32 s3, s3, 4
	.loc	1 13 37                         ; persistent_matmul.py:13:37 @[ persistent_matmul.py:65:90 ]
	s_wait_alu depctr_sa_sdst(0)
	s_abs_i32 s4, s3
	s_ashr_i32 s3, s3, 31
	s_wait_alu depctr_sa_sdst(0)
	s_cvt_f32_u32 s5, s4
	s_sub_co_i32 s6, 0, s4
	s_wait_alu depctr_sa_sdst(0)
	s_delay_alu instid0(SALU_CYCLE_1) | instskip(NEXT) | instid1(TRANS32_DEP_1)
	v_rcp_iflag_f32_e32 v0, s5
	v_readfirstlane_b32 s5, v0
	s_mul_f32 s5, s5, 0x4f7ffffe
	s_wait_alu depctr_sa_sdst(0)
	s_delay_alu instid0(SALU_CYCLE_2) | instskip(SKIP_1) | instid1(SALU_CYCLE_2)
	s_cvt_u32_f32 s5, s5
	s_wait_alu depctr_sa_sdst(0)
	s_mul_i32 s6, s6, s5
	s_wait_alu depctr_sa_sdst(0)
	s_mul_hi_u32 s6, s5, s6
	s_wait_alu depctr_sa_sdst(0)
	s_add_co_i32 s5, s5, s6
	s_wait_alu depctr_sa_sdst(0)
	s_mul_hi_u32 s6, s16, s5
	s_wait_alu depctr_sa_sdst(0)
	s_mul_i32 s6, s6, s4
	s_wait_alu depctr_sa_sdst(0)
	s_sub_co_i32 s6, s16, s6
	s_wait_alu depctr_sa_sdst(0)
	s_sub_co_i32 s7, s6, s4
	s_cmp_ge_u32 s6, s4
	s_wait_alu depctr_sa_sdst(0)
	s_cselect_b32 s6, s7, s6
	s_wait_alu depctr_sa_sdst(0)
	s_sub_co_i32 s7, s6, s4
	s_cmp_ge_u32 s6, s4
	s_wait_alu depctr_sa_sdst(0)
	s_cselect_b32 s6, s7, s6
	.loc	1 14 44                         ; persistent_matmul.py:14:44 @[ persistent_matmul.py:65:90 ]
	s_add_co_i32 s7, s26, s8
	.loc	1 13 37                         ; persistent_matmul.py:13:37 @[ persistent_matmul.py:65:90 ]
	s_wait_alu depctr_sa_sdst(0)
	s_xor_b32 s6, s6, s0
	.loc	1 14 44                         ; persistent_matmul.py:14:44 @[ persistent_matmul.py:65:90 ]
	s_ashr_i32 s7, s7, 31
	.loc	1 13 37                         ; persistent_matmul.py:13:37 @[ persistent_matmul.py:65:90 ]
	s_wait_alu depctr_sa_sdst(0)
	s_sub_co_i32 s0, s6, s0
	.loc	1 14 44                         ; persistent_matmul.py:14:44 @[ persistent_matmul.py:65:90 ]
	s_sub_co_i32 s1, s7, s1
	.loc	1 13 27                         ; persistent_matmul.py:13:27 @[ persistent_matmul.py:65:90 ]
	s_wait_alu depctr_sa_sdst(0)
	s_add_co_i32 s2, s2, s0
	.loc	1 14 44                         ; persistent_matmul.py:14:44 @[ persistent_matmul.py:65:90 ]
	s_add_co_i32 s1, s26, s1
	s_xor_b32 s3, s7, s3
	s_wait_alu depctr_sa_sdst(0)
	s_xor_b32 s1, s1, s7
	s_wait_alu depctr_sa_sdst(0)
	s_mul_hi_u32 s5, s1, s5
	s_wait_alu depctr_sa_sdst(0)
	s_mul_i32 s6, s5, s4
	s_wait_alu depctr_sa_sdst(0)
	s_sub_co_i32 s0, s1, s6
	s_add_co_i32 s1, s5, 1
	s_wait_alu depctr_sa_sdst(0)
	s_sub_co_i32 s6, s0, s4
	s_cmp_ge_u32 s0, s4
	s_cselect_b32 s1, s1, s5
	s_wait_alu depctr_sa_sdst(0)
	s_cselect_b32 s0, s6, s0
	s_add_co_i32 s5, s1, 1
	s_wait_alu depctr_sa_sdst(0)
	s_cmp_ge_u32 s0, s4
	s_cselect_b32 s0, s5, s1
.Ltmp38:
	.loc	1 66 26                         ; persistent_matmul.py:66:26
	s_lshl_b32 s16, s2, 7
.Ltmp39:
	.loc	1 14 44                         ; persistent_matmul.py:14:44 @[ persistent_matmul.py:65:90 ]
	s_wait_alu depctr_sa_sdst(0)
	s_xor_b32 s0, s0, s3
.Ltmp40:
	.loc	1 66 41                         ; persistent_matmul.py:66:41
	v_or_b32_e32 v3, s16, v77
.Ltmp41:
	.loc	1 14 44                         ; persistent_matmul.py:14:44 @[ persistent_matmul.py:65:90 ]
	s_wait_alu depctr_sa_sdst(0)
	s_sub_co_i32 s0, s0, s3
.Ltmp42:
	.loc	1 67 26                         ; persistent_matmul.py:67:26
	s_wait_alu depctr_sa_sdst(0)
	s_lshl_b32 s30, s0, 6
	.loc	1 68 37                         ; persistent_matmul.py:68:37
	v_mul_lo_u32 v0, v3, s18
	.loc	1 67 41                         ; persistent_matmul.py:67:41
	s_wait_alu depctr_sa_sdst(0)
	v_or_b32_e32 v4, s30, v65
	.loc	1 69 37                         ; persistent_matmul.py:69:37
	v_cmp_gt_i32_e64 s3, s22, v3
	s_delay_alu instid0(VALU_DEP_2) | instskip(NEXT) | instid1(VALU_DEP_4)
	.loc	1 69 62 is_stmt 0               ; persistent_matmul.py:69:62
	v_cmp_gt_i32_e32 vcc_lo, s23, v4
	.loc	1 68 25 is_stmt 1               ; persistent_matmul.py:68:25
	v_ashrrev_i32_e32 v1, 31, v0
	s_delay_alu instid0(VALU_DEP_1) | instskip(SKIP_1) | instid1(VALU_DEP_2)
	v_lshlrev_b64_e32 v[1:2], 1, v[0:1]
	.loc	1 68 68 is_stmt 0               ; persistent_matmul.py:68:68
	v_mul_lo_u32 v0, v4, s19
	.loc	1 68 25                         ; persistent_matmul.py:68:25
	v_add_co_u32 v33, s0, s20, v1
	s_wait_alu depctr_va_sdst(0)
	s_delay_alu instid0(VALU_DEP_3) | instskip(NEXT) | instid1(VALU_DEP_3)
	v_add_co_ci_u32_e64 v34, null, s21, v2, s0
	.loc	1 68 56                         ; persistent_matmul.py:68:56
	v_ashrrev_i32_e32 v1, 31, v0
	.loc	1 69 43 is_stmt 1               ; persistent_matmul.py:69:43
	s_and_b32 s0, s3, vcc_lo
	.loc	1 74 25                         ; persistent_matmul.py:74:25
	s_wait_alu depctr_sa_sdst(0)
	s_and_saveexec_b32 s1, s0
	s_cbranch_execz .LBB0_175
; %bb.174:                              ;   in Loop: Header=BB0_173 Depth=1
	.loc	1 0 25 is_stmt 0                ; persistent_matmul.py:0:25
	v_lshlrev_b64_e32 v[2:3], 1, v[0:1]
	s_delay_alu instid0(VALU_DEP_1) | instskip(SKIP_1) | instid1(VALU_DEP_2)
	v_add_co_u32 v2, s0, v33, v2
	s_wait_alu depctr_va_sdst(0)
	v_add_co_ci_u32_e64 v3, null, v34, v3, s0
	.loc	1 74 25                         ; persistent_matmul.py:74:25
	global_store_b16 v[2:3], v32, off
.LBB0_175:                              ;   in Loop: Header=BB0_173 Depth=1
	.loc	1 0 25                          ; persistent_matmul.py:0:25
	s_wait_alu depctr_sa_sdst(0)
	s_or_b32 exec_lo, exec_lo, s1
	.loc	1 67 41 is_stmt 1               ; persistent_matmul.py:67:41
	v_or_b32_e32 v3, s30, v66
	s_delay_alu instid0(VALU_DEP_1)
	.loc	1 68 68                         ; persistent_matmul.py:68:68
	v_mul_lo_u32 v2, v3, s19
	.loc	1 69 62                         ; persistent_matmul.py:69:62
	v_cmp_gt_i32_e64 s0, s23, v3
	.loc	1 69 43 is_stmt 0               ; persistent_matmul.py:69:43
	s_and_b32 s1, s3, s0
	.loc	1 68 56 is_stmt 1               ; persistent_matmul.py:68:56
	v_ashrrev_i32_e32 v3, 31, v2
	.loc	1 74 25                         ; persistent_matmul.py:74:25
	s_wait_alu depctr_sa_sdst(0)
	s_and_saveexec_b32 s2, s1
	s_cbranch_execz .LBB0_177
; %bb.176:                              ;   in Loop: Header=BB0_173 Depth=1
	.loc	1 0 25 is_stmt 0                ; persistent_matmul.py:0:25
	s_delay_alu instid0(VALU_DEP_1) | instskip(NEXT) | instid1(VALU_DEP_1)
	.loc	1 68 56 is_stmt 1               ; persistent_matmul.py:68:56
	v_lshlrev_b64_e32 v[4:5], 1, v[2:3]
	v_add_co_u32 v4, s1, v33, v4
	s_wait_alu depctr_va_sdst(0)
	s_delay_alu instid0(VALU_DEP_2)
	v_add_co_ci_u32_e64 v5, null, v34, v5, s1
	.loc	1 74 25                         ; persistent_matmul.py:74:25
	global_store_b16 v[4:5], v32, off
.LBB0_177:                              ;   in Loop: Header=BB0_173 Depth=1
	.loc	1 0 25 is_stmt 0                ; persistent_matmul.py:0:25
	s_wait_alu depctr_sa_sdst(0)
	s_or_b32 exec_lo, exec_lo, s2
	.loc	1 67 41 is_stmt 1               ; persistent_matmul.py:67:41
	v_or_b32_e32 v5, s30, v67
	s_delay_alu instid0(VALU_DEP_1)
	.loc	1 68 68                         ; persistent_matmul.py:68:68
	v_mul_lo_u32 v4, v5, s19
	.loc	1 69 62                         ; persistent_matmul.py:69:62
	v_cmp_gt_i32_e64 s1, s23, v5
	.loc	1 69 43 is_stmt 0               ; persistent_matmul.py:69:43
	s_and_b32 s2, s3, s1
	.loc	1 68 56 is_stmt 1               ; persistent_matmul.py:68:56
	v_ashrrev_i32_e32 v5, 31, v4
	.loc	1 74 25                         ; persistent_matmul.py:74:25
	s_wait_alu depctr_sa_sdst(0)
	s_and_saveexec_b32 s4, s2
	s_cbranch_execz .LBB0_179
; %bb.178:                              ;   in Loop: Header=BB0_173 Depth=1
	.loc	1 0 25 is_stmt 0                ; persistent_matmul.py:0:25
	s_delay_alu instid0(VALU_DEP_1) | instskip(NEXT) | instid1(VALU_DEP_1)
	.loc	1 68 56 is_stmt 1               ; persistent_matmul.py:68:56
	v_lshlrev_b64_e32 v[6:7], 1, v[4:5]
	v_add_co_u32 v6, s2, v33, v6
	s_wait_alu depctr_va_sdst(0)
	s_delay_alu instid0(VALU_DEP_2)
	v_add_co_ci_u32_e64 v7, null, v34, v7, s2
	.loc	1 74 25                         ; persistent_matmul.py:74:25
	global_store_b16 v[6:7], v32, off
.LBB0_179:                              ;   in Loop: Header=BB0_173 Depth=1
	.loc	1 0 25 is_stmt 0                ; persistent_matmul.py:0:25
	;; [unrolled: 30-line block ×15, first 2 shown]
	s_wait_alu depctr_sa_sdst(0)
	s_or_b32 exec_lo, exec_lo, s30
	.loc	1 66 41 is_stmt 1               ; persistent_matmul.py:66:41
	v_or_b32_e32 v35, s16, v82
	s_delay_alu instid0(VALU_DEP_1) | instskip(SKIP_3) | instid1(VALU_DEP_1)
	.loc	1 68 37                         ; persistent_matmul.py:68:37
	v_mul_lo_u32 v33, v35, s18
	.loc	1 69 37                         ; persistent_matmul.py:69:37
	v_cmp_gt_i32_e64 s3, s22, v35
	.loc	1 69 43 is_stmt 0               ; persistent_matmul.py:69:43
	s_and_b32 s30, s3, vcc_lo
	.loc	1 68 25 is_stmt 1               ; persistent_matmul.py:68:25
	v_ashrrev_i32_e32 v34, 31, v33
	v_lshlrev_b64_e32 v[33:34], 1, v[33:34]
	s_delay_alu instid0(VALU_DEP_1) | instskip(SKIP_1) | instid1(VALU_DEP_2)
	v_add_co_u32 v33, s16, s20, v33
	s_wait_alu depctr_va_sdst(0)
	v_add_co_ci_u32_e64 v34, null, s21, v34, s16
	.loc	1 74 25                         ; persistent_matmul.py:74:25
	s_wait_alu depctr_sa_sdst(0)
	s_and_saveexec_b32 s16, s30
	s_cbranch_execnz .LBB0_221
; %bb.206:                              ;   in Loop: Header=BB0_173 Depth=1
	.loc	1 0 25 is_stmt 0                ; persistent_matmul.py:0:25
	s_wait_alu depctr_sa_sdst(0)
	s_or_b32 exec_lo, exec_lo, s16
	.loc	1 69 43 is_stmt 1               ; persistent_matmul.py:69:43
	s_and_b32 s16, s3, s0
	.loc	1 74 25                         ; persistent_matmul.py:74:25
	s_wait_alu depctr_sa_sdst(0)
	s_and_saveexec_b32 s0, s16
	s_cbranch_execnz .LBB0_222
.LBB0_207:                              ;   in Loop: Header=BB0_173 Depth=1
	.loc	1 0 25 is_stmt 0                ; persistent_matmul.py:0:25
	s_wait_alu depctr_sa_sdst(0)
	s_or_b32 exec_lo, exec_lo, s0
	.loc	1 69 43 is_stmt 1               ; persistent_matmul.py:69:43
	s_and_b32 s1, s3, s1
	.loc	1 74 25                         ; persistent_matmul.py:74:25
	s_wait_alu depctr_sa_sdst(0)
	s_and_saveexec_b32 s0, s1
	s_cbranch_execnz .LBB0_223
.LBB0_208:                              ;   in Loop: Header=BB0_173 Depth=1
	.loc	1 0 25 is_stmt 0                ; persistent_matmul.py:0:25
	s_wait_alu depctr_sa_sdst(0)
	s_or_b32 exec_lo, exec_lo, s0
	.loc	1 69 43 is_stmt 1               ; persistent_matmul.py:69:43
	s_and_b32 s1, s3, s2
	.loc	1 74 25                         ; persistent_matmul.py:74:25
	s_wait_alu depctr_sa_sdst(0)
	s_and_saveexec_b32 s0, s1
	s_cbranch_execnz .LBB0_224
.LBB0_209:                              ;   in Loop: Header=BB0_173 Depth=1
	.loc	1 0 25 is_stmt 0                ; persistent_matmul.py:0:25
	s_wait_alu depctr_sa_sdst(0)
	s_or_b32 exec_lo, exec_lo, s0
	.loc	1 69 43 is_stmt 1               ; persistent_matmul.py:69:43
	s_and_b32 s1, s3, s4
	.loc	1 74 25                         ; persistent_matmul.py:74:25
	s_wait_alu depctr_sa_sdst(0)
	s_and_saveexec_b32 s0, s1
	s_cbranch_execnz .LBB0_225
.LBB0_210:                              ;   in Loop: Header=BB0_173 Depth=1
	.loc	1 0 25 is_stmt 0                ; persistent_matmul.py:0:25
	s_wait_alu depctr_sa_sdst(0)
	s_or_b32 exec_lo, exec_lo, s0
	.loc	1 69 43 is_stmt 1               ; persistent_matmul.py:69:43
	s_and_b32 s1, s3, s5
	.loc	1 74 25                         ; persistent_matmul.py:74:25
	s_wait_alu depctr_sa_sdst(0)
	s_and_saveexec_b32 s0, s1
	s_cbranch_execnz .LBB0_226
.LBB0_211:                              ;   in Loop: Header=BB0_173 Depth=1
	.loc	1 0 25 is_stmt 0                ; persistent_matmul.py:0:25
	s_wait_alu depctr_sa_sdst(0)
	s_or_b32 exec_lo, exec_lo, s0
	.loc	1 69 43 is_stmt 1               ; persistent_matmul.py:69:43
	s_and_b32 s1, s3, s6
	.loc	1 74 25                         ; persistent_matmul.py:74:25
	s_wait_alu depctr_sa_sdst(0)
	s_and_saveexec_b32 s0, s1
	s_cbranch_execnz .LBB0_227
.LBB0_212:                              ;   in Loop: Header=BB0_173 Depth=1
	.loc	1 0 25 is_stmt 0                ; persistent_matmul.py:0:25
	s_wait_alu depctr_sa_sdst(0)
	s_or_b32 exec_lo, exec_lo, s0
	.loc	1 69 43 is_stmt 1               ; persistent_matmul.py:69:43
	s_and_b32 s1, s3, s7
	.loc	1 74 25                         ; persistent_matmul.py:74:25
	s_wait_alu depctr_sa_sdst(0)
	s_and_saveexec_b32 s0, s1
	s_cbranch_execnz .LBB0_228
.LBB0_213:                              ;   in Loop: Header=BB0_173 Depth=1
	.loc	1 0 25 is_stmt 0                ; persistent_matmul.py:0:25
	s_wait_alu depctr_sa_sdst(0)
	s_or_b32 exec_lo, exec_lo, s0
	.loc	1 69 43 is_stmt 1               ; persistent_matmul.py:69:43
	s_and_b32 s1, s3, s8
	.loc	1 74 25                         ; persistent_matmul.py:74:25
	s_wait_alu depctr_sa_sdst(0)
	s_and_saveexec_b32 s0, s1
	s_cbranch_execnz .LBB0_229
.LBB0_214:                              ;   in Loop: Header=BB0_173 Depth=1
	.loc	1 0 25 is_stmt 0                ; persistent_matmul.py:0:25
	s_wait_alu depctr_sa_sdst(0)
	s_or_b32 exec_lo, exec_lo, s0
	.loc	1 69 43 is_stmt 1               ; persistent_matmul.py:69:43
	s_and_b32 s1, s3, s9
	.loc	1 74 25                         ; persistent_matmul.py:74:25
	s_wait_alu depctr_sa_sdst(0)
	s_and_saveexec_b32 s0, s1
	s_cbranch_execnz .LBB0_230
.LBB0_215:                              ;   in Loop: Header=BB0_173 Depth=1
	.loc	1 0 25 is_stmt 0                ; persistent_matmul.py:0:25
	s_wait_alu depctr_sa_sdst(0)
	s_or_b32 exec_lo, exec_lo, s0
	.loc	1 69 43 is_stmt 1               ; persistent_matmul.py:69:43
	s_and_b32 s1, s3, s10
	.loc	1 74 25                         ; persistent_matmul.py:74:25
	s_wait_alu depctr_sa_sdst(0)
	s_and_saveexec_b32 s0, s1
	s_cbranch_execnz .LBB0_231
.LBB0_216:                              ;   in Loop: Header=BB0_173 Depth=1
	.loc	1 0 25 is_stmt 0                ; persistent_matmul.py:0:25
	s_wait_alu depctr_sa_sdst(0)
	s_or_b32 exec_lo, exec_lo, s0
	.loc	1 69 43 is_stmt 1               ; persistent_matmul.py:69:43
	s_and_b32 s1, s3, s11
	.loc	1 74 25                         ; persistent_matmul.py:74:25
	s_wait_alu depctr_sa_sdst(0)
	s_and_saveexec_b32 s0, s1
	s_cbranch_execnz .LBB0_232
.LBB0_217:                              ;   in Loop: Header=BB0_173 Depth=1
	.loc	1 0 25 is_stmt 0                ; persistent_matmul.py:0:25
	s_wait_alu depctr_sa_sdst(0)
	s_or_b32 exec_lo, exec_lo, s0
	.loc	1 69 43 is_stmt 1               ; persistent_matmul.py:69:43
	s_and_b32 s1, s3, s12
	.loc	1 74 25                         ; persistent_matmul.py:74:25
	s_wait_alu depctr_sa_sdst(0)
	s_and_saveexec_b32 s0, s1
	s_cbranch_execnz .LBB0_233
.LBB0_218:                              ;   in Loop: Header=BB0_173 Depth=1
	.loc	1 0 25 is_stmt 0                ; persistent_matmul.py:0:25
	s_wait_alu depctr_sa_sdst(0)
	s_or_b32 exec_lo, exec_lo, s0
	.loc	1 69 43 is_stmt 1               ; persistent_matmul.py:69:43
	s_and_b32 s1, s3, s13
	.loc	1 74 25                         ; persistent_matmul.py:74:25
	s_wait_alu depctr_sa_sdst(0)
	s_and_saveexec_b32 s0, s1
	s_cbranch_execnz .LBB0_234
.LBB0_219:                              ;   in Loop: Header=BB0_173 Depth=1
	.loc	1 0 25 is_stmt 0                ; persistent_matmul.py:0:25
	s_wait_alu depctr_sa_sdst(0)
	s_or_b32 exec_lo, exec_lo, s0
	.loc	1 69 43 is_stmt 1               ; persistent_matmul.py:69:43
	s_and_b32 s1, s3, s14
	.loc	1 74 25                         ; persistent_matmul.py:74:25
	s_wait_alu depctr_sa_sdst(0)
	s_and_saveexec_b32 s0, s1
	s_cbranch_execnz .LBB0_235
.LBB0_220:                              ;   in Loop: Header=BB0_173 Depth=1
	.loc	1 0 25 is_stmt 0                ; persistent_matmul.py:0:25
	s_wait_alu depctr_sa_sdst(0)
	s_or_b32 exec_lo, exec_lo, s0
	.loc	1 69 43 is_stmt 1               ; persistent_matmul.py:69:43
	s_and_b32 s1, s3, s15
	.loc	1 74 25                         ; persistent_matmul.py:74:25
	s_wait_alu depctr_sa_sdst(0)
	s_and_saveexec_b32 s0, s1
	s_cbranch_execz .LBB0_172
	s_branch .LBB0_236
.LBB0_221:                              ;   in Loop: Header=BB0_173 Depth=1
	.loc	1 68 56                         ; persistent_matmul.py:68:56
	v_lshlrev_b64_e32 v[0:1], 1, v[0:1]
	s_delay_alu instid0(VALU_DEP_1) | instskip(SKIP_1) | instid1(VALU_DEP_2)
	v_add_co_u32 v0, vcc_lo, v33, v0
	s_wait_alu depctr_va_vcc(0)
	v_add_co_ci_u32_e64 v1, null, v34, v1, vcc_lo
	.loc	1 74 25                         ; persistent_matmul.py:74:25
	global_store_b16 v[0:1], v32, off
	s_wait_alu depctr_sa_sdst(0)
	s_or_b32 exec_lo, exec_lo, s16
	.loc	1 69 43                         ; persistent_matmul.py:69:43
	s_and_b32 s16, s3, s0
	.loc	1 74 25                         ; persistent_matmul.py:74:25
	s_wait_alu depctr_sa_sdst(0)
	s_and_saveexec_b32 s0, s16
	s_cbranch_execz .LBB0_207
.LBB0_222:                              ;   in Loop: Header=BB0_173 Depth=1
	.loc	1 68 56                         ; persistent_matmul.py:68:56
	v_lshlrev_b64_e32 v[0:1], 1, v[2:3]
	s_delay_alu instid0(VALU_DEP_1) | instskip(SKIP_1) | instid1(VALU_DEP_2)
	v_add_co_u32 v0, vcc_lo, v33, v0
	s_wait_alu depctr_va_vcc(0)
	v_add_co_ci_u32_e64 v1, null, v34, v1, vcc_lo
	.loc	1 74 25                         ; persistent_matmul.py:74:25
	global_store_b16 v[0:1], v32, off
	s_wait_alu depctr_sa_sdst(0)
	s_or_b32 exec_lo, exec_lo, s0
	.loc	1 69 43                         ; persistent_matmul.py:69:43
	s_and_b32 s1, s3, s1
	.loc	1 74 25                         ; persistent_matmul.py:74:25
	s_wait_alu depctr_sa_sdst(0)
	s_and_saveexec_b32 s0, s1
	s_cbranch_execz .LBB0_208
.LBB0_223:                              ;   in Loop: Header=BB0_173 Depth=1
	.loc	1 68 56                         ; persistent_matmul.py:68:56
	v_lshlrev_b64_e32 v[0:1], 1, v[4:5]
	s_delay_alu instid0(VALU_DEP_1) | instskip(SKIP_1) | instid1(VALU_DEP_2)
	v_add_co_u32 v0, vcc_lo, v33, v0
	s_wait_alu depctr_va_vcc(0)
	v_add_co_ci_u32_e64 v1, null, v34, v1, vcc_lo
	.loc	1 74 25                         ; persistent_matmul.py:74:25
	global_store_b16 v[0:1], v32, off
	s_wait_alu depctr_sa_sdst(0)
	s_or_b32 exec_lo, exec_lo, s0
	.loc	1 69 43                         ; persistent_matmul.py:69:43
	s_and_b32 s1, s3, s2
	.loc	1 74 25                         ; persistent_matmul.py:74:25
	s_wait_alu depctr_sa_sdst(0)
	s_and_saveexec_b32 s0, s1
	s_cbranch_execz .LBB0_209
.LBB0_224:                              ;   in Loop: Header=BB0_173 Depth=1
	.loc	1 68 56                         ; persistent_matmul.py:68:56
	v_lshlrev_b64_e32 v[0:1], 1, v[6:7]
	s_delay_alu instid0(VALU_DEP_1) | instskip(SKIP_1) | instid1(VALU_DEP_2)
	v_add_co_u32 v0, vcc_lo, v33, v0
	s_wait_alu depctr_va_vcc(0)
	v_add_co_ci_u32_e64 v1, null, v34, v1, vcc_lo
	.loc	1 74 25                         ; persistent_matmul.py:74:25
	global_store_b16 v[0:1], v32, off
	s_wait_alu depctr_sa_sdst(0)
	s_or_b32 exec_lo, exec_lo, s0
	.loc	1 69 43                         ; persistent_matmul.py:69:43
	s_and_b32 s1, s3, s4
	.loc	1 74 25                         ; persistent_matmul.py:74:25
	s_wait_alu depctr_sa_sdst(0)
	s_and_saveexec_b32 s0, s1
	s_cbranch_execz .LBB0_210
.LBB0_225:                              ;   in Loop: Header=BB0_173 Depth=1
	.loc	1 68 56                         ; persistent_matmul.py:68:56
	v_lshlrev_b64_e32 v[0:1], 1, v[8:9]
	s_delay_alu instid0(VALU_DEP_1) | instskip(SKIP_1) | instid1(VALU_DEP_2)
	v_add_co_u32 v0, vcc_lo, v33, v0
	s_wait_alu depctr_va_vcc(0)
	v_add_co_ci_u32_e64 v1, null, v34, v1, vcc_lo
	.loc	1 74 25                         ; persistent_matmul.py:74:25
	global_store_b16 v[0:1], v32, off
	s_wait_alu depctr_sa_sdst(0)
	s_or_b32 exec_lo, exec_lo, s0
	.loc	1 69 43                         ; persistent_matmul.py:69:43
	s_and_b32 s1, s3, s5
	.loc	1 74 25                         ; persistent_matmul.py:74:25
	s_wait_alu depctr_sa_sdst(0)
	s_and_saveexec_b32 s0, s1
	s_cbranch_execz .LBB0_211
.LBB0_226:                              ;   in Loop: Header=BB0_173 Depth=1
	.loc	1 68 56                         ; persistent_matmul.py:68:56
	v_lshlrev_b64_e32 v[0:1], 1, v[10:11]
	s_delay_alu instid0(VALU_DEP_1) | instskip(SKIP_1) | instid1(VALU_DEP_2)
	v_add_co_u32 v0, vcc_lo, v33, v0
	s_wait_alu depctr_va_vcc(0)
	v_add_co_ci_u32_e64 v1, null, v34, v1, vcc_lo
	.loc	1 74 25                         ; persistent_matmul.py:74:25
	global_store_b16 v[0:1], v32, off
	s_wait_alu depctr_sa_sdst(0)
	s_or_b32 exec_lo, exec_lo, s0
	.loc	1 69 43                         ; persistent_matmul.py:69:43
	s_and_b32 s1, s3, s6
	.loc	1 74 25                         ; persistent_matmul.py:74:25
	s_wait_alu depctr_sa_sdst(0)
	s_and_saveexec_b32 s0, s1
	s_cbranch_execz .LBB0_212
.LBB0_227:                              ;   in Loop: Header=BB0_173 Depth=1
	.loc	1 68 56                         ; persistent_matmul.py:68:56
	v_lshlrev_b64_e32 v[0:1], 1, v[12:13]
	s_delay_alu instid0(VALU_DEP_1) | instskip(SKIP_1) | instid1(VALU_DEP_2)
	v_add_co_u32 v0, vcc_lo, v33, v0
	s_wait_alu depctr_va_vcc(0)
	v_add_co_ci_u32_e64 v1, null, v34, v1, vcc_lo
	.loc	1 74 25                         ; persistent_matmul.py:74:25
	global_store_b16 v[0:1], v32, off
	s_wait_alu depctr_sa_sdst(0)
	s_or_b32 exec_lo, exec_lo, s0
	.loc	1 69 43                         ; persistent_matmul.py:69:43
	s_and_b32 s1, s3, s7
	.loc	1 74 25                         ; persistent_matmul.py:74:25
	s_wait_alu depctr_sa_sdst(0)
	s_and_saveexec_b32 s0, s1
	s_cbranch_execz .LBB0_213
.LBB0_228:                              ;   in Loop: Header=BB0_173 Depth=1
	.loc	1 68 56                         ; persistent_matmul.py:68:56
	v_lshlrev_b64_e32 v[0:1], 1, v[14:15]
	s_delay_alu instid0(VALU_DEP_1) | instskip(SKIP_1) | instid1(VALU_DEP_2)
	v_add_co_u32 v0, vcc_lo, v33, v0
	s_wait_alu depctr_va_vcc(0)
	v_add_co_ci_u32_e64 v1, null, v34, v1, vcc_lo
	.loc	1 74 25                         ; persistent_matmul.py:74:25
	global_store_b16 v[0:1], v32, off
	s_wait_alu depctr_sa_sdst(0)
	s_or_b32 exec_lo, exec_lo, s0
	.loc	1 69 43                         ; persistent_matmul.py:69:43
	s_and_b32 s1, s3, s8
	.loc	1 74 25                         ; persistent_matmul.py:74:25
	s_wait_alu depctr_sa_sdst(0)
	s_and_saveexec_b32 s0, s1
	s_cbranch_execz .LBB0_214
.LBB0_229:                              ;   in Loop: Header=BB0_173 Depth=1
	.loc	1 68 56                         ; persistent_matmul.py:68:56
	v_lshlrev_b64_e32 v[0:1], 1, v[16:17]
	s_delay_alu instid0(VALU_DEP_1) | instskip(SKIP_1) | instid1(VALU_DEP_2)
	v_add_co_u32 v0, vcc_lo, v33, v0
	s_wait_alu depctr_va_vcc(0)
	v_add_co_ci_u32_e64 v1, null, v34, v1, vcc_lo
	.loc	1 74 25                         ; persistent_matmul.py:74:25
	global_store_b16 v[0:1], v32, off
	s_wait_alu depctr_sa_sdst(0)
	s_or_b32 exec_lo, exec_lo, s0
	.loc	1 69 43                         ; persistent_matmul.py:69:43
	s_and_b32 s1, s3, s9
	.loc	1 74 25                         ; persistent_matmul.py:74:25
	s_wait_alu depctr_sa_sdst(0)
	s_and_saveexec_b32 s0, s1
	s_cbranch_execz .LBB0_215
.LBB0_230:                              ;   in Loop: Header=BB0_173 Depth=1
	.loc	1 68 56                         ; persistent_matmul.py:68:56
	v_lshlrev_b64_e32 v[0:1], 1, v[18:19]
	s_delay_alu instid0(VALU_DEP_1) | instskip(SKIP_1) | instid1(VALU_DEP_2)
	v_add_co_u32 v0, vcc_lo, v33, v0
	s_wait_alu depctr_va_vcc(0)
	v_add_co_ci_u32_e64 v1, null, v34, v1, vcc_lo
	.loc	1 74 25                         ; persistent_matmul.py:74:25
	global_store_b16 v[0:1], v32, off
	s_wait_alu depctr_sa_sdst(0)
	s_or_b32 exec_lo, exec_lo, s0
	.loc	1 69 43                         ; persistent_matmul.py:69:43
	s_and_b32 s1, s3, s10
	.loc	1 74 25                         ; persistent_matmul.py:74:25
	s_wait_alu depctr_sa_sdst(0)
	s_and_saveexec_b32 s0, s1
	s_cbranch_execz .LBB0_216
.LBB0_231:                              ;   in Loop: Header=BB0_173 Depth=1
	.loc	1 68 56                         ; persistent_matmul.py:68:56
	v_lshlrev_b64_e32 v[0:1], 1, v[20:21]
	s_delay_alu instid0(VALU_DEP_1) | instskip(SKIP_1) | instid1(VALU_DEP_2)
	v_add_co_u32 v0, vcc_lo, v33, v0
	s_wait_alu depctr_va_vcc(0)
	v_add_co_ci_u32_e64 v1, null, v34, v1, vcc_lo
	.loc	1 74 25                         ; persistent_matmul.py:74:25
	global_store_b16 v[0:1], v32, off
	s_wait_alu depctr_sa_sdst(0)
	s_or_b32 exec_lo, exec_lo, s0
	.loc	1 69 43                         ; persistent_matmul.py:69:43
	s_and_b32 s1, s3, s11
	.loc	1 74 25                         ; persistent_matmul.py:74:25
	s_wait_alu depctr_sa_sdst(0)
	s_and_saveexec_b32 s0, s1
	s_cbranch_execz .LBB0_217
.LBB0_232:                              ;   in Loop: Header=BB0_173 Depth=1
	.loc	1 68 56                         ; persistent_matmul.py:68:56
	v_lshlrev_b64_e32 v[0:1], 1, v[22:23]
	s_delay_alu instid0(VALU_DEP_1) | instskip(SKIP_1) | instid1(VALU_DEP_2)
	v_add_co_u32 v0, vcc_lo, v33, v0
	s_wait_alu depctr_va_vcc(0)
	v_add_co_ci_u32_e64 v1, null, v34, v1, vcc_lo
	.loc	1 74 25                         ; persistent_matmul.py:74:25
	global_store_b16 v[0:1], v32, off
	s_wait_alu depctr_sa_sdst(0)
	s_or_b32 exec_lo, exec_lo, s0
	.loc	1 69 43                         ; persistent_matmul.py:69:43
	s_and_b32 s1, s3, s12
	.loc	1 74 25                         ; persistent_matmul.py:74:25
	s_wait_alu depctr_sa_sdst(0)
	s_and_saveexec_b32 s0, s1
	s_cbranch_execz .LBB0_218
.LBB0_233:                              ;   in Loop: Header=BB0_173 Depth=1
	.loc	1 68 56                         ; persistent_matmul.py:68:56
	v_lshlrev_b64_e32 v[0:1], 1, v[24:25]
	s_delay_alu instid0(VALU_DEP_1) | instskip(SKIP_1) | instid1(VALU_DEP_2)
	v_add_co_u32 v0, vcc_lo, v33, v0
	s_wait_alu depctr_va_vcc(0)
	v_add_co_ci_u32_e64 v1, null, v34, v1, vcc_lo
	.loc	1 74 25                         ; persistent_matmul.py:74:25
	global_store_b16 v[0:1], v32, off
	s_wait_alu depctr_sa_sdst(0)
	s_or_b32 exec_lo, exec_lo, s0
	.loc	1 69 43                         ; persistent_matmul.py:69:43
	s_and_b32 s1, s3, s13
	.loc	1 74 25                         ; persistent_matmul.py:74:25
	s_wait_alu depctr_sa_sdst(0)
	s_and_saveexec_b32 s0, s1
	s_cbranch_execz .LBB0_219
.LBB0_234:                              ;   in Loop: Header=BB0_173 Depth=1
	.loc	1 68 56                         ; persistent_matmul.py:68:56
	v_lshlrev_b64_e32 v[0:1], 1, v[26:27]
	s_delay_alu instid0(VALU_DEP_1) | instskip(SKIP_1) | instid1(VALU_DEP_2)
	v_add_co_u32 v0, vcc_lo, v33, v0
	s_wait_alu depctr_va_vcc(0)
	v_add_co_ci_u32_e64 v1, null, v34, v1, vcc_lo
	.loc	1 74 25                         ; persistent_matmul.py:74:25
	global_store_b16 v[0:1], v32, off
	s_wait_alu depctr_sa_sdst(0)
	s_or_b32 exec_lo, exec_lo, s0
	.loc	1 69 43                         ; persistent_matmul.py:69:43
	s_and_b32 s1, s3, s14
	.loc	1 74 25                         ; persistent_matmul.py:74:25
	s_wait_alu depctr_sa_sdst(0)
	s_and_saveexec_b32 s0, s1
	s_cbranch_execz .LBB0_220
.LBB0_235:                              ;   in Loop: Header=BB0_173 Depth=1
	.loc	1 68 56                         ; persistent_matmul.py:68:56
	v_lshlrev_b64_e32 v[0:1], 1, v[28:29]
	s_delay_alu instid0(VALU_DEP_1) | instskip(SKIP_1) | instid1(VALU_DEP_2)
	v_add_co_u32 v0, vcc_lo, v33, v0
	s_wait_alu depctr_va_vcc(0)
	v_add_co_ci_u32_e64 v1, null, v34, v1, vcc_lo
	.loc	1 74 25                         ; persistent_matmul.py:74:25
	global_store_b16 v[0:1], v32, off
	s_wait_alu depctr_sa_sdst(0)
	s_or_b32 exec_lo, exec_lo, s0
	.loc	1 69 43                         ; persistent_matmul.py:69:43
	s_and_b32 s1, s3, s15
	.loc	1 74 25                         ; persistent_matmul.py:74:25
	s_wait_alu depctr_sa_sdst(0)
	s_and_saveexec_b32 s0, s1
	s_cbranch_execz .LBB0_172
.LBB0_236:                              ;   in Loop: Header=BB0_173 Depth=1
	.loc	1 68 56                         ; persistent_matmul.py:68:56
	v_lshlrev_b64_e32 v[0:1], 1, v[30:31]
	s_delay_alu instid0(VALU_DEP_1) | instskip(SKIP_1) | instid1(VALU_DEP_2)
	v_add_co_u32 v0, vcc_lo, v33, v0
	s_wait_alu depctr_va_vcc(0)
	v_add_co_ci_u32_e64 v1, null, v34, v1, vcc_lo
	.loc	1 74 25                         ; persistent_matmul.py:74:25
	global_store_b16 v[0:1], v32, off
	s_branch .LBB0_172
.LBB0_237:                              ; %.loopexit
	.loc	1 43 4                          ; persistent_matmul.py:43:4
	s_nop 0
	s_sendmsg sendmsg(MSG_DEALLOC_VGPRS)
	s_endpgm
.Ltmp43:
	.section	.rodata,"a",@progbits
	.p2align	6, 0x0
	.amdhsa_kernel matmul_kernel_persistent
		.amdhsa_group_segment_fixed_size 0
		.amdhsa_private_segment_fixed_size 0
		.amdhsa_kernarg_size 80
		.amdhsa_user_sgpr_count 2
		.amdhsa_user_sgpr_dispatch_ptr 0
		.amdhsa_user_sgpr_queue_ptr 0
		.amdhsa_user_sgpr_kernarg_segment_ptr 1
		.amdhsa_user_sgpr_dispatch_id 0
		.amdhsa_user_sgpr_private_segment_size 0
		.amdhsa_wavefront_size32 1
		.amdhsa_uses_dynamic_stack 0
		.amdhsa_enable_private_segment 0
		.amdhsa_system_sgpr_workgroup_id_x 1
		.amdhsa_system_sgpr_workgroup_id_y 1
		.amdhsa_system_sgpr_workgroup_id_z 1
		.amdhsa_system_sgpr_workgroup_info 0
		.amdhsa_system_vgpr_workitem_id 0
		.amdhsa_next_free_vgpr 160
		.amdhsa_next_free_sgpr 80
		.amdhsa_reserve_vcc 1
		.amdhsa_float_round_mode_32 0
		.amdhsa_float_round_mode_16_64 0
		.amdhsa_float_denorm_mode_32 3
		.amdhsa_float_denorm_mode_16_64 3
		.amdhsa_fp16_overflow 0
		.amdhsa_workgroup_processor_mode 1
		.amdhsa_memory_ordered 1
		.amdhsa_forward_progress 1
		.amdhsa_inst_pref_size 127
		.amdhsa_round_robin_scheduling 0
		.amdhsa_exception_fp_ieee_invalid_op 0
		.amdhsa_exception_fp_denorm_src 0
		.amdhsa_exception_fp_ieee_div_zero 0
		.amdhsa_exception_fp_ieee_overflow 0
		.amdhsa_exception_fp_ieee_underflow 0
		.amdhsa_exception_fp_ieee_inexact 0
		.amdhsa_exception_int_div_zero 0
	.end_amdhsa_kernel
	.text
.Lfunc_end0:
	.size	matmul_kernel_persistent, .Lfunc_end0-matmul_kernel_persistent
	.cfi_endproc
                                        ; -- End function
	.set matmul_kernel_persistent.num_vgpr, 160
	.set matmul_kernel_persistent.num_agpr, 0
	.set matmul_kernel_persistent.numbered_sgpr, 80
	.set matmul_kernel_persistent.num_named_barrier, 0
	.set matmul_kernel_persistent.private_seg_size, 0
	.set matmul_kernel_persistent.uses_vcc, 1
	.set matmul_kernel_persistent.uses_flat_scratch, 0
	.set matmul_kernel_persistent.has_dyn_sized_stack, 0
	.set matmul_kernel_persistent.has_recursion, 0
	.set matmul_kernel_persistent.has_indirect_call, 0
	.section	.AMDGPU.csdata,"",@progbits
; Kernel info:
; codeLenInByte = 16148
; TotalNumSgprs: 82
; NumVgprs: 160
; ScratchSize: 0
; MemoryBound: 0
; FloatMode: 240
; IeeeMode: 1
; LDSByteSize: 0 bytes/workgroup (compile time only)
; SGPRBlocks: 0
; VGPRBlocks: 19
; NumSGPRsForWavesPerEU: 82
; NumVGPRsForWavesPerEU: 160
; Occupancy: 9
; WaveLimiterHint : 0
; COMPUTE_PGM_RSRC2:SCRATCH_EN: 0
; COMPUTE_PGM_RSRC2:USER_SGPR: 2
; COMPUTE_PGM_RSRC2:TRAP_HANDLER: 0
; COMPUTE_PGM_RSRC2:TGID_X_EN: 1
; COMPUTE_PGM_RSRC2:TGID_Y_EN: 1
; COMPUTE_PGM_RSRC2:TGID_Z_EN: 1
; COMPUTE_PGM_RSRC2:TIDIG_COMP_CNT: 0
	.text
	.p2alignl 7, 3214868480
	.fill 96, 4, 3214868480
	.section	.AMDGPU.gpr_maximums,"",@progbits
	.set amdgpu.max_num_vgpr, 0
	.set amdgpu.max_num_agpr, 0
	.set amdgpu.max_num_sgpr, 0
	.set amdgpu.max_num_named_barrier, 0
	.text
	.section	.debug_abbrev,"",@progbits
	.byte	1                               ; Abbreviation Code
	.byte	17                              ; DW_TAG_compile_unit
	.byte	1                               ; DW_CHILDREN_yes
	.byte	37                              ; DW_AT_producer
	.byte	14                              ; DW_FORM_strp
	.byte	19                              ; DW_AT_language
	.byte	5                               ; DW_FORM_data2
	.byte	3                               ; DW_AT_name
	.byte	14                              ; DW_FORM_strp
	.byte	16                              ; DW_AT_stmt_list
	.byte	23                              ; DW_FORM_sec_offset
	.byte	27                              ; DW_AT_comp_dir
	.byte	14                              ; DW_FORM_strp
	.byte	17                              ; DW_AT_low_pc
	.byte	1                               ; DW_FORM_addr
	.byte	18                              ; DW_AT_high_pc
	.byte	6                               ; DW_FORM_data4
	.byte	0                               ; EOM(1)
	.byte	0                               ; EOM(2)
	.byte	2                               ; Abbreviation Code
	.byte	46                              ; DW_TAG_subprogram
	.byte	0                               ; DW_CHILDREN_no
	.byte	3                               ; DW_AT_name
	.byte	14                              ; DW_FORM_strp
	.byte	32                              ; DW_AT_inline
	.byte	11                              ; DW_FORM_data1
	.byte	0                               ; EOM(1)
	.byte	0                               ; EOM(2)
	.byte	3                               ; Abbreviation Code
	.byte	46                              ; DW_TAG_subprogram
	.byte	1                               ; DW_CHILDREN_yes
	.byte	17                              ; DW_AT_low_pc
	.byte	1                               ; DW_FORM_addr
	.byte	18                              ; DW_AT_high_pc
	.byte	6                               ; DW_FORM_data4
	.byte	49                              ; DW_AT_abstract_origin
	.byte	19                              ; DW_FORM_ref4
	.byte	0                               ; EOM(1)
	.byte	0                               ; EOM(2)
	.byte	4                               ; Abbreviation Code
	.byte	29                              ; DW_TAG_inlined_subroutine
	.byte	0                               ; DW_CHILDREN_no
	.byte	49                              ; DW_AT_abstract_origin
	.byte	19                              ; DW_FORM_ref4
	.byte	85                              ; DW_AT_ranges
	.byte	23                              ; DW_FORM_sec_offset
	.byte	88                              ; DW_AT_call_file
	.byte	11                              ; DW_FORM_data1
	.byte	89                              ; DW_AT_call_line
	.byte	11                              ; DW_FORM_data1
	.byte	87                              ; DW_AT_call_column
	.byte	11                              ; DW_FORM_data1
	.byte	0                               ; EOM(1)
	.byte	0                               ; EOM(2)
	;; [unrolled: 1-line block ×3, first 2 shown]
	.section	.debug_info,"",@progbits
.Lcu_begin0:
	.long	.Ldebug_info_end0-.Ldebug_info_start0 ; Length of Unit
.Ldebug_info_start0:
	.short	4                               ; DWARF version number
	.long	.debug_abbrev                   ; Offset Into Abbrev. Section
	.byte	8                               ; Address Size (in bytes)
	.byte	1                               ; Abbrev [1] 0xb:0x74 DW_TAG_compile_unit
	.long	.Linfo_string0                  ; DW_AT_producer
	.short	2                               ; DW_AT_language
	.long	.Linfo_string1                  ; DW_AT_name
	.long	.Lline_table_start0             ; DW_AT_stmt_list
	.long	.Linfo_string2                  ; DW_AT_comp_dir
	.quad	.Lfunc_begin0                   ; DW_AT_low_pc
	.long	.Lfunc_end0-.Lfunc_begin0       ; DW_AT_high_pc
	.byte	2                               ; Abbrev [2] 0x2a:0x6 DW_TAG_subprogram
	.long	.Linfo_string3                  ; DW_AT_name
	.byte	1                               ; DW_AT_inline
	.byte	3                               ; Abbrev [3] 0x30:0x4e DW_TAG_subprogram
	.quad	.Lfunc_begin0                   ; DW_AT_low_pc
	.long	.Lfunc_end0-.Lfunc_begin0       ; DW_AT_high_pc
	.long	42                              ; DW_AT_abstract_origin
	.byte	4                               ; Abbrev [4] 0x41:0xc DW_TAG_inlined_subroutine
	.long	42                              ; DW_AT_abstract_origin
	.long	.Ldebug_ranges0                 ; DW_AT_ranges
	.byte	1                               ; DW_AT_call_file
	.byte	31                              ; DW_AT_call_line
	.byte	27                              ; DW_AT_call_column
	.byte	4                               ; Abbrev [4] 0x4d:0xc DW_TAG_inlined_subroutine
	.long	42                              ; DW_AT_abstract_origin
	.long	.Ldebug_ranges1                 ; DW_AT_ranges
	.byte	1                               ; DW_AT_call_file
	.byte	32                              ; DW_AT_call_line
	.byte	27                              ; DW_AT_call_column
	;; [unrolled: 6-line block ×5, first 2 shown]
	.byte	0                               ; End Of Children Mark
	.byte	0                               ; End Of Children Mark
.Ldebug_info_end0:
	.section	.debug_ranges,"",@progbits
.Ldebug_ranges0:
	.quad	.Ltmp1-.Lfunc_begin0
	.quad	.Ltmp2-.Lfunc_begin0
	.quad	.Ltmp3-.Lfunc_begin0
	.quad	.Ltmp4-.Lfunc_begin0
	.quad	.Ltmp5-.Lfunc_begin0
	.quad	.Ltmp6-.Lfunc_begin0
	.quad	.Ltmp7-.Lfunc_begin0
	.quad	.Ltmp8-.Lfunc_begin0
	.quad	.Ltmp9-.Lfunc_begin0
	.quad	.Ltmp10-.Lfunc_begin0
	.quad	0
	.quad	0
.Ldebug_ranges1:
	.quad	.Ltmp2-.Lfunc_begin0
	.quad	.Ltmp3-.Lfunc_begin0
	;; [unrolled: 1-line block ×10, first 2 shown]
	.quad	0
	.quad	0
.Ldebug_ranges2:
	.quad	.Ltmp13-.Lfunc_begin0
	.quad	.Ltmp14-.Lfunc_begin0
	;; [unrolled: 1-line block ×10, first 2 shown]
	.quad	0
	.quad	0
.Ldebug_ranges3:
	.quad	.Ltmp23-.Lfunc_begin0
	.quad	.Ltmp24-.Lfunc_begin0
	;; [unrolled: 1-line block ×6, first 2 shown]
	.quad	0
	.quad	0
.Ldebug_ranges4:
	.quad	.Ltmp29-.Lfunc_begin0
	.quad	.Ltmp30-.Lfunc_begin0
	;; [unrolled: 1-line block ×14, first 2 shown]
	.quad	0
	.quad	0
	.section	.debug_str,"MS",@progbits,1
.Linfo_string0:
	.asciz	"triton"                        ; string offset=0
.Linfo_string1:
	.asciz	"persistent_matmul.py"          ; string offset=7
.Linfo_string2:
	.asciz	"/root/src/amdgpu-assembly/repos/triton-lang__triton-aot" ; string offset=28
.Linfo_string3:
	.asciz	"matmul_kernel_persistent"      ; string offset=84
	.section	".note.GNU-stack","",@progbits
	.amdgpu_metadata
---
amdhsa.kernels:
  - .args:
      - .address_space:  global
        .offset:         0
        .size:           8
        .value_kind:     global_buffer
      - .address_space:  global
        .offset:         8
        .size:           8
        .value_kind:     global_buffer
      - .address_space:  global
        .offset:         16
        .size:           8
        .value_kind:     global_buffer
      - .offset:         24
        .size:           4
        .value_kind:     by_value
      - .offset:         28
        .size:           4
        .value_kind:     by_value
      - .offset:         32
        .size:           4
        .value_kind:     by_value
      - .offset:         36
        .size:           4
        .value_kind:     by_value
      - .offset:         40
        .size:           4
        .value_kind:     by_value
      - .offset:         44
        .size:           4
        .value_kind:     by_value
      - .offset:         48
        .size:           4
        .value_kind:     by_value
      - .offset:         52
        .size:           4
        .value_kind:     by_value
      - .offset:         56
        .size:           4
        .value_kind:     by_value
      - .address_space:  global
        .offset:         64
        .size:           8
        .value_kind:     global_buffer
      - .address_space:  global
        .offset:         72
        .size:           8
        .value_kind:     global_buffer
    .group_segment_fixed_size: 0
    .kernarg_segment_align: 8
    .kernarg_segment_size: 80
    .max_flat_workgroup_size: 256
    .name:           matmul_kernel_persistent
    .private_segment_fixed_size: 0
    .sgpr_count:     82
    .sgpr_spill_count: 0
    .symbol:         matmul_kernel_persistent.kd
    .uniform_work_group_size: 1
    .uses_dynamic_stack: false
    .vgpr_count:     160
    .vgpr_spill_count: 0
    .wavefront_size: 32
    .workgroup_processor_mode: 1
amdhsa.target:   amdgcn-amd-amdhsa--gfx1201
amdhsa.version:
  - 1
  - 2
...

	.end_amdgpu_metadata
	.section	.debug_line,"",@progbits
.Lline_table_start0:
